;; amdgpu-corpus repo=ROCm/Tensile kind=harvested arch=n/a opt=n/a

/******************************************/
/* Function Prefix                        */
/******************************************/



/******************************************/
/* Begin Kernel                           */
/******************************************/

// Component.Signature.SignatureDefault
.amdgcn_target "amdgcn-amd-amdhsa--gfx90a"
.text
.protected Cijk_Alik_Bljk_BBS_BH_MT128x4x128_MI4x4x4x16_SN_1LDSB1_APM1_AF0EM1_AF1EM1_AMAS0_ASGT_ASLT15_ASAE01_ASCE01_ASEM1_BL1_BS1_CLR0_DTLA0_DTLB0_DTVA0_DVO0_EPS1_FL0_GLVWA8_GLVWB4_GRVW8_GSU1_GSUASB_GLS0_ISA90a_IU1_K1_KLA_LBSPPA256_LBSPPB256_LPA8_LPB8_LDL1_LRVW8_LDW0_FMA_MIAV0_MMFGLC_NTA0_NTB0_NTC0_NTD0_NEPBS0_NLCA1_NLCB1_ONLL1_OPLV0_PK0_PAP0_PGR1_PLR33_SIA3_SS0_SU0_SUM0_SUS0_SCIUI1_SPO1_SRVW0_SSO4_SVW4_SNLL0_TT1_4_TLDS1_UMLDSA1_UMLDSB1_USFGROn1_VAW1_VSn1_VW1_VWB1_VFLRP0_WSGRA0_WSGRB0_WG128_1_1_WGM8
.globl Cijk_Alik_Bljk_BBS_BH_MT128x4x128_MI4x4x4x16_SN_1LDSB1_APM1_AF0EM1_AF1EM1_AMAS0_ASGT_ASLT15_ASAE01_ASCE01_ASEM1_BL1_BS1_CLR0_DTLA0_DTLB0_DTVA0_DVO0_EPS1_FL0_GLVWA8_GLVWB4_GRVW8_GSU1_GSUASB_GLS0_ISA90a_IU1_K1_KLA_LBSPPA256_LBSPPB256_LPA8_LPB8_LDL1_LRVW8_LDW0_FMA_MIAV0_MMFGLC_NTA0_NTB0_NTC0_NTD0_NEPBS0_NLCA1_NLCB1_ONLL1_OPLV0_PK0_PAP0_PGR1_PLR33_SIA3_SS0_SU0_SUM0_SUS0_SCIUI1_SPO1_SRVW0_SSO4_SVW4_SNLL0_TT1_4_TLDS1_UMLDSA1_UMLDSB1_USFGROn1_VAW1_VSn1_VW1_VWB1_VFLRP0_WSGRA0_WSGRB0_WG128_1_1_WGM8
.p2align 8
.type Cijk_Alik_Bljk_BBS_BH_MT128x4x128_MI4x4x4x16_SN_1LDSB1_APM1_AF0EM1_AF1EM1_AMAS0_ASGT_ASLT15_ASAE01_ASCE01_ASEM1_BL1_BS1_CLR0_DTLA0_DTLB0_DTVA0_DVO0_EPS1_FL0_GLVWA8_GLVWB4_GRVW8_GSU1_GSUASB_GLS0_ISA90a_IU1_K1_KLA_LBSPPA256_LBSPPB256_LPA8_LPB8_LDL1_LRVW8_LDW0_FMA_MIAV0_MMFGLC_NTA0_NTB0_NTC0_NTD0_NEPBS0_NLCA1_NLCB1_ONLL1_OPLV0_PK0_PAP0_PGR1_PLR33_SIA3_SS0_SU0_SUM0_SUS0_SCIUI1_SPO1_SRVW0_SSO4_SVW4_SNLL0_TT1_4_TLDS1_UMLDSA1_UMLDSB1_USFGROn1_VAW1_VSn1_VW1_VWB1_VFLRP0_WSGRA0_WSGRB0_WG128_1_1_WGM8,@function
.section .rodata,#alloc
.p2align 6
.amdhsa_kernel Cijk_Alik_Bljk_BBS_BH_MT128x4x128_MI4x4x4x16_SN_1LDSB1_APM1_AF0EM1_AF1EM1_AMAS0_ASGT_ASLT15_ASAE01_ASCE01_ASEM1_BL1_BS1_CLR0_DTLA0_DTLB0_DTVA0_DVO0_EPS1_FL0_GLVWA8_GLVWB4_GRVW8_GSU1_GSUASB_GLS0_ISA90a_IU1_K1_KLA_LBSPPA256_LBSPPB256_LPA8_LPB8_LDL1_LRVW8_LDW0_FMA_MIAV0_MMFGLC_NTA0_NTB0_NTC0_NTD0_NEPBS0_NLCA1_NLCB1_ONLL1_OPLV0_PK0_PAP0_PGR1_PLR33_SIA3_SS0_SU0_SUM0_SUS0_SCIUI1_SPO1_SRVW0_SSO4_SVW4_SNLL0_TT1_4_TLDS1_UMLDSA1_UMLDSB1_USFGROn1_VAW1_VSn1_VW1_VWB1_VFLRP0_WSGRA0_WSGRB0_WG128_1_1_WGM8
  .amdhsa_user_sgpr_kernarg_segment_ptr 1
  .amdhsa_user_sgpr_kernarg_preload_offset 0
  .amdhsa_user_sgpr_kernarg_preload_length 0
  .amdhsa_user_sgpr_count 2
  .amdhsa_accum_offset 256 // accvgpr offset
  .amdhsa_next_free_vgpr 260 // vgprs
  .amdhsa_next_free_sgpr 73 // sgprs
  .amdhsa_group_segment_fixed_size 35904 // lds bytes
  .amdhsa_private_segment_fixed_size 0
  .amdhsa_system_sgpr_workgroup_id_x 1
  .amdhsa_system_sgpr_workgroup_id_y 1
  .amdhsa_system_sgpr_workgroup_id_z 1
  .amdhsa_system_vgpr_workitem_id 0
  .amdhsa_float_denorm_mode_32 3
  .amdhsa_float_denorm_mode_16_64 3
.end_amdhsa_kernel
.text

/******************************************/
/* Optimizations and Config:              */
/******************************************/
/* ThreadTile= 4 x 1 */
/* SubGroup= 32 x 4 */
/* VectorWidthA=1 */
/* VectorWidthB=1 */
/* GlobalLoadVectorWidthA=8, GlobalLoadVectorWidthB=4 */
/* DirectToLdsA=False */
/* DirectToLdsB=False */
/* UseSgprForGRO=1 */
.amdgpu_metadata
---
amdhsa.version:
  - 1
  - 1
amdhsa.target: amdgcn-amd-amdhsa--gfx90a
amdhsa.kernels:
  - .name: Cijk_Alik_Bljk_BBS_BH_MT128x4x128_MI4x4x4x16_SN_1LDSB1_APM1_AF0EM1_AF1EM1_AMAS0_ASGT_ASLT15_ASAE01_ASCE01_ASEM1_BL1_BS1_CLR0_DTLA0_DTLB0_DTVA0_DVO0_EPS1_FL0_GLVWA8_GLVWB4_GRVW8_GSU1_GSUASB_GLS0_ISA90a_IU1_K1_KLA_LBSPPA256_LBSPPB256_LPA8_LPB8_LDL1_LRVW8_LDW0_FMA_MIAV0_MMFGLC_NTA0_NTB0_NTC0_NTD0_NEPBS0_NLCA1_NLCB1_ONLL1_OPLV0_PK0_PAP0_PGR1_PLR33_SIA3_SS0_SU0_SUM0_SUS0_SCIUI1_SPO1_SRVW0_SSO4_SVW4_SNLL0_TT1_4_TLDS1_UMLDSA1_UMLDSB1_USFGROn1_VAW1_VSn1_VW1_VWB1_VFLRP0_WSGRA0_WSGRB0_WG128_1_1_WGM8
    .symbol: 'Cijk_Alik_Bljk_BBS_BH_MT128x4x128_MI4x4x4x16_SN_1LDSB1_APM1_AF0EM1_AF1EM1_AMAS0_ASGT_ASLT15_ASAE01_ASCE01_ASEM1_BL1_BS1_CLR0_DTLA0_DTLB0_DTVA0_DVO0_EPS1_FL0_GLVWA8_GLVWB4_GRVW8_GSU1_GSUASB_GLS0_ISA90a_IU1_K1_KLA_LBSPPA256_LBSPPB256_LPA8_LPB8_LDL1_LRVW8_LDW0_FMA_MIAV0_MMFGLC_NTA0_NTB0_NTC0_NTD0_NEPBS0_NLCA1_NLCB1_ONLL1_OPLV0_PK0_PAP0_PGR1_PLR33_SIA3_SS0_SU0_SUM0_SUS0_SCIUI1_SPO1_SRVW0_SSO4_SVW4_SNLL0_TT1_4_TLDS1_UMLDSA1_UMLDSB1_USFGROn1_VAW1_VSn1_VW1_VWB1_VFLRP0_WSGRA0_WSGRB0_WG128_1_1_WGM8.kd'
    .language:                   OpenCL C
    .language_version:
      - 2
      - 0
    .args:
      - .name:            Tensor2dSizeA
        .size:            8
        .offset:          0
        .value_kind:      by_value
        .value_type:      u64
      - .name:            Tensor2dSizeB
        .size:            8
        .offset:          8
        .value_kind:      by_value
        .value_type:      u64
      - .name:            AddressD
        .size:            8
        .offset:          16
        .value_kind:      by_value
        .value_type:      u64
      - .name:            AddressC
        .size:            8
        .offset:          24
        .value_kind:      by_value
        .value_type:      u64
      - .name:            AddressA
        .size:            8
        .offset:          32
        .value_kind:      by_value
        .value_type:      u64
      - .name:            AddressB
        .size:            8
        .offset:          40
        .value_kind:      by_value
        .value_type:      u64
      - .name:            Alpha
        .size:            4
        .offset:          48
        .value_kind:      by_value
        .value_type:      u32
      - .name:            Beta
        .size:            4
        .offset:          52
        .value_kind:      by_value
        .value_type:      u32
      - .name:            StridesD
        .size:            8
        .offset:          56
        .value_kind:      by_value
        .value_type:      u64
      - .name:            StridesC
        .size:            8
        .offset:          64
        .value_kind:      by_value
        .value_type:      u64
      - .name:            StridesA
        .size:            8
        .offset:          72
        .value_kind:      by_value
        .value_type:      u64
      - .name:            StridesB
        .size:            8
        .offset:          80
        .value_kind:      by_value
        .value_type:      u64
      - .name:            SizesFree
        .size:            12
        .offset:          88
        .value_kind:      by_value
        .value_type:      u96
      - .name:            SizesSum
        .size:            4
        .offset:          100
        .value_kind:      by_value
        .value_type:      u32
      - .name:            NumWorkGroups0
        .size:            4
        .offset:          104
        .value_kind:      by_value
        .value_type:      u32
      - .name:            NumWorkGroups1
        .size:            4
        .offset:          108
        .value_kind:      by_value
        .value_type:      u32
      - .name:            NumFullBlocks
        .size:            4
        .offset:          112
        .value_kind:      by_value
        .value_type:      u32
      - .name:            WgmRemainder1
        .size:            4
        .offset:          116
        .value_kind:      by_value
        .value_type:      u32
      - .name:            MagicNumberWgmRemainder1
        .size:            4
        .offset:          120
        .value_kind:      by_value
        .value_type:      u32
    .group_segment_fixed_size:   35904
    .kernarg_segment_align:      8
    .kernarg_segment_size:       128
    .max_flat_workgroup_size:    128
    .private_segment_fixed_size: 0
    .sgpr_count:                 73
    .sgpr_spill_count:           0
    .vgpr_count:                 256
    .vgpr_spill_count:           0
    .wavefront_size:             64
...
.end_amdgpu_metadata
Cijk_Alik_Bljk_BBS_BH_MT128x4x128_MI4x4x4x16_SN_1LDSB1_APM1_AF0EM1_AF1EM1_AMAS0_ASGT_ASLT15_ASAE01_ASCE01_ASEM1_BL1_BS1_CLR0_DTLA0_DTLB0_DTVA0_DVO0_EPS1_FL0_GLVWA8_GLVWB4_GRVW8_GSU1_GSUASB_GLS0_ISA90a_IU1_K1_KLA_LBSPPA256_LBSPPB256_LPA8_LPB8_LDL1_LRVW8_LDW0_FMA_MIAV0_MMFGLC_NTA0_NTB0_NTC0_NTD0_NEPBS0_NLCA1_NLCB1_ONLL1_OPLV0_PK0_PAP0_PGR1_PLR33_SIA3_SS0_SU0_SUM0_SUS0_SCIUI1_SPO1_SRVW0_SSO4_SVW4_SNLL0_TT1_4_TLDS1_UMLDSA1_UMLDSB1_USFGROn1_VAW1_VSn1_VW1_VWB1_VFLRP0_WSGRA0_WSGRB0_WG128_1_1_WGM8:

/******************************************/
/* Asm syntax workarounds                 */
/******************************************/
.macro _v_add_co_u32 dst:req, cc:req, src0:req, src1:req, dpp=
   v_add_co_u32 \dst, \cc, \src0, \src1 \dpp
.endm

.macro _v_add_u32 dst:req, src0:req, src1:req, dpp=
   v_add_u32 \dst, \src0, \src1 \dpp
.endm

.macro _v_add_i32 dst:req, src0:req, src1:req, dpp=
   v_add_i32 \dst, \src0, \src1 \dpp
.endm

.macro _v_addc_co_u32 dst:req, ccOut:req, src0:req, ccIn:req, src1:req, dpp=
   v_addc_co_u32 \dst, \ccOut, \src0, \ccIn, \src1 \dpp
.endm

.macro _v_sub_co_u32 dst:req, cc:req, src0:req, src1:req, dpp=
   v_sub_co_u32 \dst, \cc, \src0, \src1 \dpp
.endm

.macro _v_sub_u32 dst:req, src0:req, src1:req, dpp=
   v_sub_u32 \dst, \src0, \src1 \dpp
.endm

.macro _v_sub_i32 dst:req, src0:req, src1:req, dpp=
   v_sub_i32 \dst, \src0, \src1 \dpp
.endm

.macro _v_add_lshl_u32 dst:req, src0:req, src1:req, shiftCnt:req
    v_add_lshl_u32 \dst, \src0, \src1, \shiftCnt
.endm

.macro _v_lshl_add_u32 dst:req, src0:req, src1:req, shiftCnt:req
    v_lshl_add_u32 \dst, \src0, \src1, \shiftCnt
.endm

.macro _v_lshl_or_b32 dst:req, src0:req, shiftCnt:req, src1:req
    v_lshl_or_b32 \dst, \src0, \shiftCnt, \src1
.endm

.macro _v_dot2acc_f32_f16 dst, src0, src1
v_dot2c_f32_f16 \dst, \src0, \src1
.endm

.macro _v_cmpx_lt_i16 dst, src0, src1=
   v_cmpx_lt_i16 \dst, \src0, \src1 
.endm

.macro _v_cmpx_lt_i32 dst, src0, src1=
   v_cmpx_lt_i32 \dst, \src0, \src1 
.endm

.macro _v_cmpx_lt_i64 dst, src0, src1=
   v_cmpx_lt_i64 \dst, \src0, \src1 
.endm

.macro _v_cmpx_lt_u16 dst, src0, src1=
   v_cmpx_lt_u16 \dst, \src0, \src1 
.endm

.macro _v_cmpx_lt_u32 dst, src0, src1=
   v_cmpx_lt_u32 \dst, \src0, \src1 
.endm

.macro _v_cmpx_lt_u64 dst, src0, src1=
   v_cmpx_lt_u64 \dst, \src0, \src1 
.endm

.macro _v_cmpx_eq_i16 dst, src0, src1=
   v_cmpx_eq_i16 \dst, \src0, \src1 
.endm

.macro _v_cmpx_eq_i32 dst, src0, src1=
   v_cmpx_eq_i32 \dst, \src0, \src1 
.endm

.macro _v_cmpx_eq_i64 dst, src0, src1=
   v_cmpx_eq_i64 \dst, \src0, \src1 
.endm

.macro _v_cmpx_eq_u16 dst, src0, src1=
   v_cmpx_eq_u16 \dst, \src0, \src1 
.endm

.macro _v_cmpx_eq_u32 dst, src0, src1=
   v_cmpx_eq_u32 \dst, \src0, \src1 
.endm

.macro _v_cmpx_eq_u64 dst, src0, src1=
   v_cmpx_eq_u64 \dst, \src0, \src1 
.endm

.macro _v_cmpx_le_i16 dst, src0, src1=
   v_cmpx_le_i16 \dst, \src0, \src1 
.endm

.macro _v_cmpx_le_i32 dst, src0, src1=
   v_cmpx_le_i32 \dst, \src0, \src1 
.endm

.macro _v_cmpx_le_i64 dst, src0, src1=
   v_cmpx_le_i64 \dst, \src0, \src1 
.endm

.macro _v_cmpx_le_u16 dst, src0, src1=
   v_cmpx_le_u16 \dst, \src0, \src1 
.endm

.macro _v_cmpx_le_u32 dst, src0, src1=
   v_cmpx_le_u32 \dst, \src0, \src1 
.endm

.macro _v_cmpx_le_u64 dst, src0, src1=
   v_cmpx_le_u64 \dst, \src0, \src1 
.endm

.macro _v_cmpx_gt_i16 dst, src0, src1=
   v_cmpx_gt_i16 \dst, \src0, \src1 
.endm

.macro _v_cmpx_gt_i32 dst, src0, src1=
   v_cmpx_gt_i32 \dst, \src0, \src1 
.endm

.macro _v_cmpx_gt_i64 dst, src0, src1=
   v_cmpx_gt_i64 \dst, \src0, \src1 
.endm

.macro _v_cmpx_gt_u16 dst, src0, src1=
   v_cmpx_gt_u16 \dst, \src0, \src1 
.endm

.macro _v_cmpx_gt_u32 dst, src0, src1=
   v_cmpx_gt_u32 \dst, \src0, \src1 
.endm

.macro _v_cmpx_gt_u64 dst, src0, src1=
   v_cmpx_gt_u64 \dst, \src0, \src1 
.endm

.macro _v_cmpx_ne_i16 dst, src0, src1=
   v_cmpx_ne_i16 \dst, \src0, \src1 
.endm

.macro _v_cmpx_ne_i32 dst, src0, src1=
   v_cmpx_ne_i32 \dst, \src0, \src1 
.endm

.macro _v_cmpx_ne_i64 dst, src0, src1=
   v_cmpx_ne_i64 \dst, \src0, \src1 
.endm

.macro _v_cmpx_ne_u16 dst, src0, src1=
   v_cmpx_ne_u16 \dst, \src0, \src1 
.endm

.macro _v_cmpx_ne_u32 dst, src0, src1=
   v_cmpx_ne_u32 \dst, \src0, \src1 
.endm

.macro _v_cmpx_ne_u64 dst, src0, src1=
   v_cmpx_ne_u64 \dst, \src0, \src1 
.endm

.macro _v_cmpx_lg_i16 dst, src0, src1=
   v_cmpx_lg_i16 \dst, \src0, \src1 
.endm

.macro _v_cmpx_lg_i32 dst, src0, src1=
   v_cmpx_lg_i32 \dst, \src0, \src1 
.endm

.macro _v_cmpx_lg_i64 dst, src0, src1=
   v_cmpx_lg_i64 \dst, \src0, \src1 
.endm

.macro _v_cmpx_lg_u16 dst, src0, src1=
   v_cmpx_lg_u16 \dst, \src0, \src1 
.endm

.macro _v_cmpx_lg_u32 dst, src0, src1=
   v_cmpx_lg_u32 \dst, \src0, \src1 
.endm

.macro _v_cmpx_lg_u64 dst, src0, src1=
   v_cmpx_lg_u64 \dst, \src0, \src1 
.endm

.macro _v_cmpx_ge_i16 dst, src0, src1=
   v_cmpx_ge_i16 \dst, \src0, \src1 
.endm

.macro _v_cmpx_ge_i32 dst, src0, src1=
   v_cmpx_ge_i32 \dst, \src0, \src1 
.endm

.macro _v_cmpx_ge_i64 dst, src0, src1=
   v_cmpx_ge_i64 \dst, \src0, \src1 
.endm

.macro _v_cmpx_ge_u16 dst, src0, src1=
   v_cmpx_ge_u16 \dst, \src0, \src1 
.endm

.macro _v_cmpx_ge_u32 dst, src0, src1=
   v_cmpx_ge_u32 \dst, \src0, \src1 
.endm

.macro _v_cmpx_ge_u64 dst, src0, src1=
   v_cmpx_ge_u64 \dst, \src0, \src1 
.endm

.macro _v_cmpx_o_i16 dst, src0, src1=
   v_cmpx_o_i16 \dst, \src0, \src1 
.endm

.macro _v_cmpx_o_i32 dst, src0, src1=
   v_cmpx_o_i32 \dst, \src0, \src1 
.endm

.macro _v_cmpx_o_i64 dst, src0, src1=
   v_cmpx_o_i64 \dst, \src0, \src1 
.endm

.macro _v_cmpx_o_u16 dst, src0, src1=
   v_cmpx_o_u16 \dst, \src0, \src1 
.endm

.macro _v_cmpx_o_u32 dst, src0, src1=
   v_cmpx_o_u32 \dst, \src0, \src1 
.endm

.macro _v_cmpx_o_u64 dst, src0, src1=
   v_cmpx_o_u64 \dst, \src0, \src1 
.endm

.macro _v_cmpx_u_i16 dst, src0, src1=
   v_cmpx_u_i16 \dst, \src0, \src1 
.endm

.macro _v_cmpx_u_i32 dst, src0, src1=
   v_cmpx_u_i32 \dst, \src0, \src1 
.endm

.macro _v_cmpx_u_i64 dst, src0, src1=
   v_cmpx_u_i64 \dst, \src0, \src1 
.endm

.macro _v_cmpx_u_u16 dst, src0, src1=
   v_cmpx_u_u16 \dst, \src0, \src1 
.endm

.macro _v_cmpx_u_u32 dst, src0, src1=
   v_cmpx_u_u32 \dst, \src0, \src1 
.endm

.macro _v_cmpx_u_u64 dst, src0, src1=
   v_cmpx_u_u64 \dst, \src0, \src1 
.endm
.macro _v_mac_f32 c:req, a:req, b:req
    v_fmac_f32 \c, \a, \b
.endmacro

/* scale global load macros */
.macro _s_load_b32 dst base offset
    s_load_dword \dst \base \offset
.endm

.macro _s_load_b64 dst base offset
    s_load_dwordx2 \dst \base \offset
.endm

.macro _s_load_b128 dst base offset
    s_load_dwordx4 \dst \base \offset
.endm

.macro _s_load_b256 dst base offset
    s_load_dwordx8 \dst \base \offset
.endm

.macro _s_load_b512 dst base offset
    s_load_dwordx16 \dst \base \offset
.endm


/* ds operation macros */
.macro _ds_load_u8 dst src offset
    ds_read_u8 \dst \src \offset
.endm

.macro _ds_load_u8_d16_hi dst src offset
    ds_read_u8_d16_hi \dst \src \offset
.endm

.macro _ds_load_u16 dst src offset
    ds_read_u16 \dst \src \offset
.endm

.macro _ds_load_u16_d16_hi dst src offset
    ds_read_u16_d16_hi \dst \src \offset
.endm

.macro _ds_load_b32 dst src offset
    ds_read_b32 \dst \src \offset
.endm

.macro _ds_load_b64 dst src offset
    ds_read_b64 \dst \src \offset
.endm

.macro _ds_load_b128 dst src offset
    ds_read_b128 \dst \src \offset
.endm

.macro _ds_store_b8 dst src offset
    ds_write_b8 \dst \src \offset
.endm

.macro _ds_store_b8_d16_hi dst src offset
    ds_write_b8_d16_hi \dst \src \offset
.endm

.macro _ds_store_b16 dst src offset
    ds_write_b16 \dst \src \offset
.endm

.macro _ds_store_b16_d16_hi dst src offset
    ds_write_b16_d16_hi \dst \src \offset
.endm

.macro _ds_store_b32 dst src offset
    ds_write_b32 \dst \src \offset
.endm

.macro _ds_store_b64 dst src offset
    ds_write_b64 \dst \src \offset
.endm

.macro _ds_store_b128 dst src offset
    ds_write_b128 \dst \src \offset
.endm

.macro _ds_load2_b32 dst src offset1 offset2
    ds_read2_b32 \dst \src \offset1 \offset2
.endm

.macro _ds_load2_b64 dst src offset1 offset2
    ds_read2_b64 \dst \src \offset1 \offset2
.endm

.macro _ds_store2_b32 dst src offset1 offset2
    ds_write2_b32 \dst \src \offset1 \offset2
.endm

.macro _ds_store2_b64 dst src offset1 offset2
    ds_write2_b64 \dst \src \offset1 \offset2
.endm


/* buffer memory operation macros */
.macro _buffer_load_b32 dst voffset base soffset offen ioffset md0 md1 md2
    buffer_load_dword \dst \voffset \base \soffset \offen \ioffset \md0 \md1 \md2
.endm

.macro _buffer_load_b64 dst voffset base soffset offen ioffset md0 md1 md2
    buffer_load_dwordx2 \dst \voffset \base \soffset \offen \ioffset \md0 \md1 \md2
.endm

.macro _buffer_load_b96 dst voffset base soffset offen ioffset md0 md1 md2
    buffer_load_dwordx3 \dst \voffset \base \soffset \offen \ioffset \md0 \md1 \md2
.endm

.macro _buffer_load_b128 dst voffset base soffset offen ioffset md0 md1 md2
    buffer_load_dwordx4 \dst \voffset \base \soffset \offen \ioffset \md0 \md1 \md2
.endm

.macro _buffer_load_d16_b16 dst voffset base soffset offen ioffset md0 md1 md2
    buffer_load_short_d16 \dst \voffset \base \soffset \offen \ioffset \md0 \md1 \md2
.endm

.macro _buffer_load_d16_hi_b16 dst voffset base soffset offen ioffset md0 md1 md2
    buffer_load_short_d16_hi \dst \voffset \base \soffset \offen \ioffset \md0 \md1 \md2
.endm

.macro _buffer_load_d16_u8 dst voffset base soffset offen ioffset md0 md1 md2
    buffer_load_ubyte_d16 \dst \voffset \base \soffset \offen \ioffset \md0 \md1 \md2
.endm

.macro _buffer_load_d16_hi_u8 dst voffset base soffset offen ioffset md0 md1 md2
    buffer_load_ubyte_d16_hi \dst \voffset \base \soffset \offen \ioffset \md0 \md1 \md2
.endm

.macro _buffer_load_u16 dst voffset base soffset offen ioffset md0 md1 md2
    buffer_load_ushort \dst \voffset \base \soffset \offen \ioffset \md0 \md1 \md2
.endm

.macro _buffer_load_b32_dtl voffset base soffset offen ioffset md0 md1 md2
    buffer_load_dword \voffset \base \soffset \offen \ioffset \md0 \md1 \md2
.endm

.macro _buffer_load_b64_dtl voffset base soffset offen ioffset md0 md1 md2
    buffer_load_dwordx2 \voffset \base \soffset \offen \ioffset \md0 \md1 \md2
.endm

.macro _buffer_load_b128_dtl voffset base soffset offen ioffset md0 md1 md2
    buffer_load_dwordx4 \voffset \base \soffset \offen \ioffset \md0 \md1 \md2
.endm

.macro _buffer_load_u16_dtl voffset base soffset offen ioffset md0 md1 md2
    buffer_load_ushort \voffset \base \soffset \offen \ioffset \md0 \md1 \md2
.endm

.macro _buffer_store_b32 src voffset base soffset offen ioffset md0 md1 md2
    buffer_store_dword \src \voffset \base \soffset \offen \ioffset \md0 \md1 \md2
.endm

.macro _buffer_store_b64 src voffset base soffset offen ioffset md0 md1 md2
    buffer_store_dwordx2 \src \voffset \base \soffset \offen \ioffset \md0 \md1 \md2
.endm

.macro _buffer_store_b96 src voffset base soffset offen ioffset md0 md1 md2
    buffer_store_dwordx3 \src \voffset \base \soffset \offen \ioffset \md0 \md1 \md2
.endm

.macro _buffer_store_b128 src voffset base soffset offen ioffset md0 md1 md2
    buffer_store_dwordx4 \src \voffset \base \soffset \offen \ioffset \md0 \md1 \md2
.endm

.macro _buffer_store_b16 src voffset base soffset offen ioffset md0 md1 md2
    buffer_store_short \src \voffset \base \soffset \offen \ioffset \md0 \md1 \md2
.endm

.macro _buffer_store_d16_hi_b16 src voffset base soffset offen ioffset md0 md1 md2
    buffer_store_short_d16_hi \src \voffset \base \soffset \offen \ioffset \md0 \md1 \md2
.endm

.macro _buffer_store_b8 src voffset base soffset offen ioffset md0 md1 md2
    buffer_store_byte \src \voffset \base \soffset \offen \ioffset \md0 \md1 \md2
.endm

.macro _buffer_store_d16_hi_b8 src voffset base soffset offen ioffset md0 md1 md2
    buffer_store_byte_d16_hi \src \voffset \base \soffset \offen \ioffset \md0 \md1 \md2
.endm

.macro _buffer_atomic_cmpswap_b32 dst voffset base soffset offen ioffset md0 md1 md2
    buffer_atomic_cmpswap \dst \voffset \base \soffset \offen \ioffset \md0 \md1 \md2
.endm

.macro _buffer_atomic_cmpswap_b64 dst voffset base soffset offen ioffset md0 md1 md2
    buffer_atomic_cmpswap_x2 \dst \voffset \base \soffset \offen \ioffset \md0 \md1 \md2
.endm


/* buffer memory operation macros */
.macro _global_load_b32 dst base src ioffset md0 md1 md2
    global_load_dword \dst \base \src \ioffset \md0 \md1 \md2
.endm

.macro _global_load_b64 dst base src ioffset md0 md1 md2
    global_load_dwordx2 \dst \base \src \ioffset \md0 \md1 \md2
.endm

.macro _global_load_b96 dst base src ioffset md0 md1 md2
    global_load_dwordx3 \dst \base \src \ioffset \md0 \md1 \md2
.endm

.macro _global_load_b128 dst base src ioffset md0 md1 md2
    global_load_dwordx4 \dst \base \src \ioffset \md0 \md1 \md2
.endm

.macro _global_load_d16_b16 dst base src ioffset md0 md1 md2
    global_load_short_d16 \dst \base \src \ioffset \md0 \md1 \md2
.endm

.macro _global_load_d16_hi_b16 dst base src ioffset md0 md1 md2
    global_load_short_d16_hi \dst \base \src \ioffset \md0 \md1 \md2
.endm

.macro _global_load_d16_u8 dst base src ioffset md0 md1 md2
    global_load_ubyte_d16 \dst \base \src \ioffset \md0 \md1 \md2
.endm

.macro _global_load_d16_hi_u8 dst base src ioffset md0 md1 md2
    global_load_ubyte_d16_hi \dst \base \src \ioffset \md0 \md1 \md2
.endm

.macro _global_load_u16 dst base src ioffset md0 md1 md2
    global_load_ushort \dst \base \src \ioffset \md0 \md1 \md2
.endm

.macro _global_store_b32 base src src2 md0 md1 md2
    global_store_dword \base \src \src2 \md0 \md1 \md2
.endm

.macro _global_store_b64 base src src2 md0 md1 md2
    global_store_dwordx2 \base \src \src2 \md0 \md1 \md2
.endm

.macro _global_store_b96 base src src2 md0 md1 md2
    global_store_dwordx3 \base \src \src2 \md0 \md1 \md2
.endm

.macro _global_store_b128 base src src2 md0 md1 md2
    global_store_dwordx4 \base \src \src2 \md0 \md1 \md2
.endm

.macro _global_store_d16_b16 base src src2 md0 md1 md2
    global_store_short \base \src \src2 \md0 \md1 \md2
.endm

.macro _global_store_d16_hi_b16 base src src2 md0 md1 md2
    global_store_short_d16_hi \base \src \src2 \md0 \md1 \md2
.endm

.macro _global_store_d16_u8 base src src2 md0 md1 md2
    global_store_ubyte_d16 \base \src \src2 \md0 \md1 \md2
.endm

.macro _global_store_d16_hi_u8 base src src2 md0 md1 md2
    global_store_ubyte_d16_hi \base \src \src2 \md0 \md1 \md2
.endm

.macro _global_store_u16 base src src2 md0 md1 md2
    global_store_ushort \base \src \src2 \md0 \md1 \md2
.endm

.macro _global_atomic_cmpswap_b32 tmp base data src ioffset md
    global_atomic_cmpswap \tmp \base \data \src \ioffset \md
.endm

.macro _global_atomic_cmpswap_b64 tmp base data src ioffset md
    global_atomic_cmpswap_x2 \tmp \base \data \src \ioffset \md
.endm


/******************************************/
/* Magic div and mod functions            */
/******************************************/
.macro V_MAGIC_DIV dstIdx:req, dividend:req, magicNumber:req, magicShift:req, magicA:req
    v_mul_hi_u32 v[\dstIdx+1], \dividend, \magicNumber
    v_mul_lo_u32 v[\dstIdx+0], \dividend, \magicA
    _v_add_u32 v[\dstIdx+0], v[\dstIdx+0], v[\dstIdx+1]
    v_lshrrev_b32 v[\dstIdx+0], \magicShift, v[\dstIdx+0]
.endm

/******************************************/
/* VGPR Assignments                       */
/******************************************/
/* ValuC range: [0-0), serializedStore enabled */
.set vgprValuC, 0
/* ValuA/B   Xn=PLR buffer idx,  In=InnerUnroll idx */
.set vgprValuA_X0_I0, 0
.set vgprValuA_X1_I0, 2
.set vgprValuA_X2_I0, 4
.set vgprValuA_X3_I0, 6
.set vgprValuA_X4_I0, 8
.set vgprValuA_X5_I0, 10
.set vgprValuA_X6_I0, 12
.set vgprValuA_X7_I0, 14
.set vgprValuA_X8_I0, 16
.set vgprValuA_X9_I0, 18
.set vgprValuA_X10_I0, 20
.set vgprValuA_X11_I0, 22
.set vgprValuA_X12_I0, 24
.set vgprValuA_X13_I0, 26
.set vgprValuA_X14_I0, 28
.set vgprValuA_X15_I0, 30
.set vgprValuA_X16_I0, 32
.set vgprValuA_X17_I0, 34
.set vgprValuA_X18_I0, 36
.set vgprValuA_X19_I0, 38
.set vgprValuA_X20_I0, 40
.set vgprValuA_X21_I0, 42
.set vgprValuA_X22_I0, 44
.set vgprValuA_X23_I0, 46
.set vgprValuA_X24_I0, 48
.set vgprValuA_X25_I0, 50
.set vgprValuA_X26_I0, 52
.set vgprValuA_X27_I0, 54
.set vgprValuA_X28_I0, 56
.set vgprValuA_X29_I0, 58
.set vgprValuA_X30_I0, 60
.set vgprValuA_X31_I0, 62
.set vgprG2LA, 132
.set vgprValuB_X0_I0, 64
.set vgprValuB_X1_I0, 66
.set vgprValuB_X2_I0, 68
.set vgprValuB_X3_I0, 70
.set vgprValuB_X4_I0, 72
.set vgprValuB_X5_I0, 74
.set vgprValuB_X6_I0, 76
.set vgprValuB_X7_I0, 78
.set vgprValuB_X8_I0, 80
.set vgprValuB_X9_I0, 82
.set vgprValuB_X10_I0, 84
.set vgprValuB_X11_I0, 86
.set vgprValuB_X12_I0, 88
.set vgprValuB_X13_I0, 90
.set vgprValuB_X14_I0, 92
.set vgprValuB_X15_I0, 94
.set vgprValuB_X16_I0, 96
.set vgprValuB_X17_I0, 98
.set vgprValuB_X18_I0, 100
.set vgprValuB_X19_I0, 102
.set vgprValuB_X20_I0, 104
.set vgprValuB_X21_I0, 106
.set vgprValuB_X22_I0, 108
.set vgprValuB_X23_I0, 110
.set vgprValuB_X24_I0, 112
.set vgprValuB_X25_I0, 114
.set vgprValuB_X26_I0, 116
.set vgprValuB_X27_I0, 118
.set vgprValuB_X28_I0, 120
.set vgprValuB_X29_I0, 122
.set vgprValuB_X30_I0, 124
.set vgprValuB_X31_I0, 126
.set vgprG2LB, 196
.set vgprLocalWriteAddrA, 128
.set vgprLocalWriteAddrB, 129
.set vgprGlobalReadOffsetA, 130
.set vgprGlobalReadOffsetB, 131
.set vgprLocalReadAddrA, 198
.set vgprLocalReadAddrB, 199
.set vgprSerial, 200
/* Num VGPR=256 */
/* Num AccVGPR=4 */

/******************************************/
/* SGPR Assignments                       */
/******************************************/
.set sgprKernArgAddress, 0 // (2)
.set sgprWorkGroup0, 2 // (1)
.set sgprWorkGroup1, 3 // (1)
.set sgprWorkGroup2, 4 // (1)
.set sgprLoopCounterL, 5 // (1)
.set sgprOrigLoopCounter, 6 // (1)
.set sgprSrdA, 8 // (4)
.set sgprSrdB, 12 // (4)
.set sgprSrdD, 16 // (4)
.set sgprSrdC, 20 // (4)
.set sgprTensor2dSizeA, 24 // (2)
.set sgprTensor2dSizeB, 26 // (2)
.set sgprAddressD, 28 // (2)
.set sgprAddressC, 30 // (2)
.set sgprAddressA, 32 // (2)
.set sgprAddressB, 34 // (2)
.set sgprAlpha, 36 // (1)
.set sgprBeta, 37 // (1)
.set sgprStridesD, 38 // (2)
.set sgprStridesC, 40 // (2)
.set sgprStridesA, 42 // (2)
.set sgprStridesB, 44 // (2)
.set sgprSizesFree, 46 // (3)
.set sgprSizesSum, 49 // (1)
.set sgprNumWorkGroups0, 50 // (1)
.set sgprNumWorkGroups1, 51 // (1)
.set sgprNumFullBlocks, 52 // (1)
.set sgprWgmRemainder1, 53 // (1)
.set sgprMagicNumberWgmRemainder1, 54 // (1)
.set sgprShadowLimitA, 0 // (2)
.set sgprShadowLimitB, 28 // (2)
.set sgprGlobalReadIncsA, 7 // (1)
.set sgprGlobalReadIncsB, 30 // (1)
.set sgprScalarGlobalReadOffsetA, 58 // (15)
/* max SGPR=73 */

/* Size Assignments */
.set sgprSizeI, sgprSizesFree+0
.set sgprSizeJ, sgprSizesFree+1
.set sgprSizeK, sgprSizesFree+2
.set sgprSizeL, sgprSizesSum+0

/* Stride Assignments */
.set constStrideD0I, 1
.set sgprStrideD1J, sgprStridesD+0
.set sgprStrideDK, sgprStridesD+1
.set constStrideC0I, 1
.set sgprStrideC1J, sgprStridesC+0
.set sgprStrideCK, sgprStridesC+1
.set constStrideAL, 1
.set sgprStrideA0I, sgprStridesA+0
.set sgprStrideAK, sgprStridesA+1
.set constStrideBL, 1
.set sgprStrideB1J, sgprStridesB+0
.set sgprStrideBK, sgprStridesB+1

.set MT0, 128
.set MT1, 4
.set DepthU, 128
.set GSU, 1
.set BpeA, 2
.set BpeALog2, 1
.set BpeB, 2
.set BpeBLog2, 1
/* Number of elements to shift-left SRD */
.set SrdShiftLeftA, 8
.set SrdShiftLeftB, 4
/* 2GB limit - set offsets to -1 to exceed this and clamp */
.set BufferLimitA, 0xffffffff
.set BufferLimitB, 0xffffffff
.set BufferOOB, 0xfffff000

/******************************************/
/* Bits 127:96 of SRD.                    */
/* hex: 0x00020000                        */
/* dst_sel_x (3b): 0                      */
/* dst_sel_y (3b): 0                      */
/* dst_sel_z (3b): 0                      */
/* dst_sel_w (3b): 0                      */
/* num_format (3b): 0                     */
/* data_format (4b): 4                    */
/* user_vm_enable (1b): 0                 */
/* user_vm_mode (1b): 0                   */
/* index_stride (2b): 0                   */
/* add_tid_enable (1b): 0                 */
/* _unusedA (3b): 0                       */
/* nv (1b): 0                             */
/* _unusedB (2b): 0                       */
/* type (2b): 0                           */
/******************************************/
.set Srd127_96, 0x00020000

/* Global Offset A */
.macro GLOBAL_OFFSET_A vgprAddr:req vgprOffsetL:req vgprOffset0I:req vgprTmp:req
v_mul_lo_u32 v[\vgprTmp+0], s[sgprStrideA0I], v[\vgprOffset0I] // mul d1 lower
_v_add_co_u32 v[\vgprAddr+0], vcc, v[\vgprOffsetL], v[\vgprTmp+0] // accumulate K lower
_v_add_u32 v[\vgprAddr+0], 0x8, v[\vgprAddr+0]     // add prepad for pointer shift
v_lshlrev_b32 v[\vgprAddr+0], 0x1, v[\vgprAddr+0]  // offset *= bytes/element
.endm

/* Global Offset B */
.macro GLOBAL_OFFSET_B vgprAddr:req vgprOffsetL:req vgprOffset1J:req vgprTmp:req
v_mul_lo_u32 v[\vgprTmp+0], s[sgprStrideB1J], v[\vgprOffset1J] // mul d1 lower
_v_add_co_u32 v[\vgprAddr+0], vcc, v[\vgprOffsetL], v[\vgprTmp+0] // accumulate K lower
_v_add_u32 v[\vgprAddr+0], 0x4, v[\vgprAddr+0]     // add prepad for pointer shift
v_lshlrev_b32 v[\vgprAddr+0], 0x1, v[\vgprAddr+0]  // offset *= bytes/element
.endm

/******************************************/
/* Dynamic Scalar Divide: vQuotient=vDividend/vDivisor; vRemainder=vDividend%vDivisor; */
/******************************************/
.macro DYNAMIC_VECTOR_DIVIDE vQuotient vRemainder vDividend vDivisor vTmp0 vTmp1 sTmp
v_cvt_f32_u32 v[\vQuotient], v[\vDivisor]          // 
v_rcp_f32 v[\vQuotient], v[\vQuotient]             // 
v_mul_f32 v[\vQuotient], 0x4f800000, v[\vQuotient] // 
v_cvt_u32_f32 v[\vQuotient], v[\vQuotient]         // 
v_mul_lo_u32 v[\vRemainder], v[\vDivisor], v[\vQuotient] // 
v_mul_hi_u32 v[\vTmp0], v[\vDivisor], v[\vQuotient] // 
_v_sub_co_u32 v[\vTmp1], vcc, 0x0, v[\vRemainder]  // 
v_cmp_ne_i32 s[\sTmp:\sTmp+1], 0x0, v[\vTmp0]      // 
v_cndmask_b32 v[\vRemainder], v[\vTmp1], v[\vRemainder], s[\sTmp:\sTmp+1] // 
v_mul_hi_u32 v[\vRemainder], v[\vRemainder], v[\vQuotient] // 
_v_sub_co_u32 v[\vTmp0], vcc, v[\vQuotient], v[\vRemainder] // 
_v_add_co_u32 v[\vQuotient], vcc, v[\vQuotient], v[\vRemainder] // 
v_cndmask_b32 v[\vQuotient], v[\vQuotient], v[\vTmp0], s[\sTmp:\sTmp+1] // 
v_mul_hi_u32 v[\vQuotient], v[\vQuotient], v[\vDividend] // 
v_mul_lo_u32 v[\vRemainder], v[\vQuotient], v[\vDivisor] // 
_v_sub_co_u32 v[\vTmp0], vcc, v[\vDividend], v[\vRemainder] // 
v_cmp_ge_u32 s[\sTmp:\sTmp+1], v[\vDividend], v[\vRemainder] // 
_v_add_co_u32 v[\vRemainder], vcc, 0x1, v[\vQuotient] // 
_v_add_co_u32 v[\vTmp1], vcc, -1, v[\vQuotient]    // 
v_cmp_le_u32 vcc, v[\vDivisor], v[\vTmp0]          // 
s_and_b64 vcc, s[\sTmp:\sTmp+1], vcc               // 
v_cndmask_b32 v[\vQuotient], v[\vQuotient], v[\vRemainder], vcc // 
v_cndmask_b32 v[\vQuotient], v[\vTmp1], v[\vQuotient], s[\sTmp:\sTmp+1] // 
v_cmp_ne_i32 vcc, 0x0, v[\vDivisor]                // 
v_cndmask_b32 v[\vQuotient], -1, v[\vQuotient], vcc // final result
v_mul_lo_u32 v[\vRemainder], v[\vQuotient], v[\vDivisor] // 
_v_sub_co_u32 v[\vRemainder], vcc, v[\vDividend], v[\vRemainder] // final result
.endm


	;; [unrolled: 1-line block ×3, first 2 shown]
/******************************************/
/* Allocate Resources                     */
/******************************************/

Cijk_Alik_Bljk_BBS_BH_MT128x4x128_MI4x4x4x16_SN_1LDSB1_APM1_AF0EM1_AF1EM1_AMAS0_ASGT_ASLT15_ASAE01_ASCE01_ASEM1_BL1_BS1_CLR0_DTLA0_DTLB0_DTVA0_DVO0_EPS1_FL0_GLVWA8_GLVWB4_GRVW8_GSU1_GSUASB_GLS0_ISA90a_IU1_K1_KLA_LBSPPA256_LBSPPB256_LPA8_LPB8_LDL1_LRVW8_LDW0_FMA_MIAV0_MMFGLC_NTA0_NTB0_NTC0_NTD0_NEPBS0_NLCA1_NLCB1_ONLL1_OPLV0_PK0_PAP0_PGR1_PLR33_SIA3_SS0_SU0_SUM0_SUS0_SCIUI1_SPO1_SRVW0_SSO4_SVW4_SNLL0_TT1_4_TLDS1_UMLDSA1_UMLDSB1_USFGROn1_VAW1_VSn1_VW1_VWB1_VFLRP0_WSGRA0_WSGRB0_WG128_1_1_WGM8_preloaded: // Kernel start when preloading
s_setprio 3                                        // optimization store

/* Load Kernel Args */
_s_load_b512 s[24:39], s[sgprKernArgAddress:sgprKernArgAddress+1], 0x0 // 
_s_load_b256 s[40:47], s[sgprKernArgAddress:sgprKernArgAddress+1], 0x40 // 
_s_load_b128 s[48:51], s[sgprKernArgAddress:sgprKernArgAddress+1], 0x60 // 
_s_load_b64 s[52:53], s[sgprKernArgAddress:sgprKernArgAddress+1], 0x70 // 
_s_load_b32 s54, s[sgprKernArgAddress:sgprKernArgAddress+1], 0x78 // 
s_mov_b32 m0, 0x8c40                               // LDS clamp at 35904 bytes
v_mov_b32 v[vgprSerial], v0                        // thread serial id

/******************************************/
/* Local Read Addresses                   */
/******************************************/


/* local read addresses: tile assignments a/b */

/*lr0I*/
v_and_b32 v1, 63, v[vgprSerial]                    // 0. thread id in wave: wtid = tid % wavelength(64)
v_and_b32 v0, 3, v1                                // 1. N offset: nIdx = wtid % MI_N(4)
v_lshlrev_b32 v0, 0x7, v0                          // 1. N offset: nOffset = nIdx * nStride(128)
v_lshrrev_b32 v2, 2, v1                            // 2. block offset: bnIdx = wtid / dividedForBlkId(4)
v_and_b32 v2, 15, v2                               // 2. block offset: bnIdx = bnIdx % num1DBlocks(16)
v_lshlrev_b32 v2, 0x9, v2                          // 2. block offset: bnOffset = bnIdx * strideBlock(512)
_v_add_u32 v0, v2, v0                              // 3. add N and block offset: bnOffset = block and N offset
                                                   // 4. apply VectorWidth: bnOffset = bnOffset * vw(1) (multiplier is 1, do nothing)
v_lshrrev_b32 v2, 6, v[vgprSerial]                 // 7. wave offset in N dimen: wtid = tid / dividedForWaveId(64)
v_and_b32 v1, 1, v2                                // 7. wave offset in M dimen: wtid0 = wtid / num1DWaves(2)
v_lshlrev_b32 v1, 0xd, v1                          // 7. wave offset in M dimen: wOffset = wtid0 * W0Stride(8192)
_v_add_u32 v0, v1, v0                              // 8. final local read offset: flrOffset = lrOffset + WOffset
/*lr1J*/
v_and_b32 v2, 63, v[vgprSerial]                    // 0. thread id in wave: wtid = tid % wavelength(64)
v_and_b32 v1, 3, v2                                // 1. N offset: nIdx = wtid % MI_N(4)
v_lshlrev_b32 v1, 0x7, v1                          // 1. N offset: nOffset = nIdx * nStride(128)
                                                   // 2. block offset: bnIdx = bnIdx % num1DBlocks(1) is 0. do nothing
                                                   // 4. apply VectorWidth: bnOffset = bnOffset * vw(1) (multiplier is 1, do nothing)


/* local read addresses: final offsets a */

v_lshlrev_b32 v[vgprLocalReadAddrA], 0x1, v0       // Final Offset: offset = (lro0)*bpe
v_lshrrev_b32 v0, 8, v[vgprLocalReadAddrA]         // Final Offset: padding 8 per block 256
v_lshlrev_b32 v0, 0x4, v0                          // Final Offset: padding 8 per block 256
_v_add_u32 v[vgprLocalReadAddrA], v0, v[vgprLocalReadAddrA] // Final Offset: add padding 8 per block 256


/* local read addresses: final offsets b */

v_lshlrev_b32 v[vgprLocalReadAddrB], 0x1, v1       // Final Offset: offset = (lro1)*bpe
v_lshrrev_b32 v0, 8, v[vgprLocalReadAddrB]         // Final Offset: padding 8 per block 256
v_lshlrev_b32 v0, 0x4, v0                          // Final Offset: padding 8 per block 256
_v_add_u32 v[vgprLocalReadAddrB], v0, v[vgprLocalReadAddrB] // Final Offset: add padding 8 per block 256


/* local read addresses: declare addresses a */

/* N/A */


/* local read addresses: declare addresses b */

_v_add_co_u32 v[vgprLocalReadAddrB+0], vcc, 0x8800, v[vgprLocalReadAddrB+0] //  += LdsOffsetB (lower)


/* global read addresses: tile offset assignment a */

/* LVCA = 16 */
/* v0 = (local)groA-tile = serial/LVCA (note (wgA*MTA) will be added to SRD) */
/* v1 = groA-unroll = serial%LVCA */
v_lshrrev_b32 v0, 4, v[vgprSerial]                 // v0 = v[vgprSerial] / 16
v_and_b32 v1, 15, v[vgprSerial]                    // v1 = v[vgprSerial] % 16
/* gro-unroll *= glvw */
v_lshlrev_b32 v1, 0x3, v1                          // v1 = v1 * 8


/* global read addresses: tile offset assignment b */

/* LVCB = 32 */
/* v2 = (local)groB-tile = serial/LVCB (note (wgB*MTB) will be added to SRD) */
/* v3 = groB-unroll = serial%LVCB */
v_lshrrev_b32 v2, 5, v[vgprSerial]                 // v2 = v[vgprSerial] / 32
v_and_b32 v3, 31, v[vgprSerial]                    // v3 = v[vgprSerial] % 32
/* gro-unroll *= glvw */
v_lshlrev_b32 v3, 0x2, v3                          // v3 = v3 * 4


/******************************************/
/* Local Write Addresses                  */
/******************************************/

/* lwaTileAssignmentA = v0 */

/* lwaTileAssignmentB = v2 */

/* lwaUnrollAssignmentA = v1 */

/* lwaUnrollAssignmentB = v3 */


/* local write addresses: first offset a */

v_mul_u32_u24 v[vgprLocalWriteAddrA], 0x80, v0     // lwAL**(DepthU_Compute + PAD)
_v_add_lshl_u32 v[vgprLocalWriteAddrA], v1, v[vgprLocalWriteAddrA], 0x1 // lwFOA = (lwAA + lwAL*(DepthU+PAD))*bpe
v_lshrrev_b32 v4, 8, v[vgprLocalWriteAddrA]        // padding 8 per block 256
v_lshlrev_b32 v4, 0x4, v4                          // padding 8 per block 256
_v_add_u32 v[vgprLocalWriteAddrA], v4, v[vgprLocalWriteAddrA] // add padding 8 per block 256


/* local write addresses: first offset b */

v_mul_u32_u24 v[vgprLocalWriteAddrB], 0x80, v2     // lwBL**(DepthU_Compute + PAD)
_v_add_lshl_u32 v[vgprLocalWriteAddrB], v3, v[vgprLocalWriteAddrB], 0x1 // lwFOB = (lwBB + lwBL*(DepthU+PAD))*bpe
v_lshrrev_b32 v4, 8, v[vgprLocalWriteAddrB]        // padding 8 per block 256
v_lshlrev_b32 v4, 0x4, v4                          // padding 8 per block 256
_v_add_u32 v[vgprLocalWriteAddrB], v4, v[vgprLocalWriteAddrB] // add padding 8 per block 256
_v_add_co_u32 v[vgprLocalWriteAddrB], vcc, 0x8800, v[vgprLocalWriteAddrB] // lwFOB = lwB1J + lwBL*MT1J + LDS_OFFSET_B=17408*2


	;; [unrolled: 1-line block ×7, first 2 shown]
s_waitcnt lgkmcnt(0)                               // wait for 124 bytes of kern args
s_mov_b64 s[sgprSrdC+0:sgprSrdC+0+1], s[sgprAddressC+0:sgprAddressC+0+1] // copy addressC
s_mov_b64 s[sgprSrdD+0:sgprSrdD+0+1], s[sgprAddressD+0:sgprAddressD+0+1] // copy addressD
s_sub_u32 s[sgprSrdA+0], s[sgprAddressA+0], 16     // pre-pad to make room for possible pointer shift
s_subb_u32 s[sgprSrdA+1], s[sgprAddressA+1], 0     // pre-pad to make room for possible pointer shift
s_sub_u32 s[sgprSrdB+0], s[sgprAddressB+0], 8      // pre-pad to make room for possible pointer shift
s_subb_u32 s[sgprSrdB+1], s[sgprAddressB+1], 0     // pre-pad to make room for possible pointer shift

.set AddressD, UNDEF
.set AddressC, UNDEF
.set AddressA, UNDEF
.set AddressB, UNDEF

/* Short circuit condition if Alpha == 0, then sumDims=0 */
v_cmp_eq_f32 vcc, s[sgprAlpha], 0.0                // Alpha == 0.0f ?
s_cbranch_vccz label_AlphaNonZero                  // branch if alpha != 0
s_mov_b32 s[sgprSizesSum+0], 0x0                   // Set summation dim=0 if Alpha == 0
label_AlphaNonZero:


	;; [unrolled: 1-line block ×3, first 2 shown]
/******************************************/
/* Begin setupNewTile, isPap=False           */
/******************************************/


/* global read addresses: work-group */

/* graWorkGroup mapping */
s_mov_b32 s35, 0x10000001L                         // magic number for WGM==8
s_mul_hi_u32 s33, s[sgprWorkGroup1], s35           // s_magic mul
s_mul_i32 s32, s[sgprWorkGroup1], s35              // s_magic mul
s_lshr_b64 s[32:33], s[32:33], 31                  // sMagicDiv
s_mul_i32 s33, s32, 8                              // quotient * non-magic divisor
s_sub_u32 s33, s[sgprWorkGroup1], s33              // WorkGroup1=remainder
s_mul_i32 s33, s33, s[sgprNumWorkGroups0]          // (wg1 % WGM)*nwg0
s_add_u32 s33, s33, s[sgprWorkGroup0]              // wgSerial = wg0 + (wg1 % WGM)*nwg1
s_cmp_ge_u32 s32, s[sgprNumFullBlocks]             // blockId >= numFullBlocks ?
s_cmov_b32 s35, s[sgprMagicNumberWgmRemainder1]    // 
s_cselect_b32 s34, s[sgprWgmRemainder1], 8         // 
s_mul_hi_u32 s3, s33, s35                          // s_magic mul
s_mul_i32 s2, s33, s35                             // s_magic mul
s_lshr_b64 s[2:3], s[2:3], 31                      // sMagicDiv
s_mul_i32 s[sgprWorkGroup1], s[sgprWorkGroup0], s34 // quotient * non-magic divisor
s_sub_u32 s[sgprWorkGroup1], s33, s[sgprWorkGroup1] // WorkGroup1=remainder
s_mul_i32 s32, s32, 8                              // blockId * WGM
s_add_u32 s[sgprWorkGroup1], s[sgprWorkGroup1], s32 // wg1 += blockId * WGM


/* global read addresses: unroll assignment a */

/* v1 */


/* global read addresses: unroll assignment b */

/* v3 */


/* global read addresses: other free assignments */

/* s[sgprWorkGroup2] */


/* global read addresses: tile offsets a */


	;; [unrolled: 1-line block ×3, first 2 shown]
/* global read addresses: tile offsets b */


	;; [unrolled: 1-line block ×3, first 2 shown]
/* global read addresses: unroll offsets a */


	;; [unrolled: 1-line block ×3, first 2 shown]
/* global read addresses: unroll offsets b */


	;; [unrolled: 1-line block ×3, first 2 shown]
/* global read addresses: final offsets a */

GLOBAL_OFFSET_A vgprGlobalReadOffsetA+0,  1,  0, 4 // gROA_0_0_0_0
s_mul_i32 s[sgprScalarGlobalReadOffsetA+0], s[sgprStrideA0I], 8 // compute offset diff (scaled tileDim)
s_lshl_b32 s[sgprScalarGlobalReadOffsetA+0], s[sgprScalarGlobalReadOffsetA+0], 0x1 // scalar offset *= bytes/element
s_mul_i32 s[sgprScalarGlobalReadOffsetA+1], s[sgprStrideA0I], 16 // compute offset diff (scaled tileDim)
s_lshl_b32 s[sgprScalarGlobalReadOffsetA+1], s[sgprScalarGlobalReadOffsetA+1], 0x1 // scalar offset *= bytes/element
	;; [unrolled: 2-line block ×15, first 2 shown]


/* global read addresses: final offsets b */

GLOBAL_OFFSET_B vgprGlobalReadOffsetB+0,  3,  2, 4 // gROB_0_0_0_0


/* global read addresses: addresses a */

/* max read offset = size[n] * stride[n-1] */
s_mul_hi_u32 s35, s[sgprWorkGroup0], 128           // WorkGroup[01] * MT
s_mul_i32 s34, s[sgprWorkGroup0], 128              // WorkGroup[01] * MT
s_mul_hi_u32 s35, s34, s[sgprStrideA0I]            // tlu=0, scaled tile-offset by stride
s_mul_i32 s34, s34, s[sgprStrideA0I]               // tlu=0, scaled tile-offset by stride
s_sub_u32 s[sgprShadowLimitA+0], s[sgprTensor2dSizeA], s34 // sub tileStart
s_subb_u32 s[sgprShadowLimitA+1], s[sgprTensor2dSizeA+1], s35 // sub tileStart
s_lshl_b64 s[sgprShadowLimitA:sgprShadowLimitA+1], s[sgprShadowLimitA:sgprShadowLimitA+1], 0x1 // Set limit to use bytes
s_add_u32 s[sgprShadowLimitA+0], s[sgprShadowLimitA+0], 16 // extend limit for pre-pad
s_addc_u32 s[sgprShadowLimitA+1], s[sgprShadowLimitA+1], 0 // extend limit for pre-pad
s_cmp_eq_u32 s[sgprShadowLimitA+1], 0              // are we within 2^32?
s_cselect_b32 s[sgprSrdA+2], s[sgprShadowLimitA+0], BufferLimitA // Move shadow to real if we are within 2^32
s_mul_hi_u32 s33, s[sgprStrideAK], s[sgprWorkGroup2] // Stride*WG
s_mul_i32 s32, s[sgprStrideAK], s[sgprWorkGroup2]  // Stride*WG
s_add_u32 s34, s34, s32                            // accum wg term to tilestart
s_addc_u32 s35, s35, s33                           // accum wg term to tilestart
s_lshl_b64 s[34:35], s[34:35], 0x1                 // tileStart *= BPE
s_add_u32 s[sgprSrdA+0], s[sgprSrdA+0], s34        // SRD base = Address+ tileStart0
s_addc_u32 s[sgprSrdA+1], s[sgprSrdA+1], s35       // SRD base = Address+ tileStart1
s_mov_b32 s[sgprSrdA+3], Srd127_96                 // Set bits 127_96 in SRD


/* global read addresses: addresses b */

/* max read offset = size[n] * stride[n-1] */
s_mul_hi_u32 s35, s[sgprWorkGroup1], 4             // WorkGroup[01] * MT
s_mul_i32 s34, s[sgprWorkGroup1], 4                // WorkGroup[01] * MT
s_mul_hi_u32 s35, s34, s[sgprStrideB1J]            // tlu=0, scaled tile-offset by stride
s_mul_i32 s34, s34, s[sgprStrideB1J]               // tlu=0, scaled tile-offset by stride
s_sub_u32 s[sgprShadowLimitB+0], s[sgprTensor2dSizeB], s34 // sub tileStart
s_subb_u32 s[sgprShadowLimitB+1], s[sgprTensor2dSizeB+1], s35 // sub tileStart
s_lshl_b64 s[sgprShadowLimitB:sgprShadowLimitB+1], s[sgprShadowLimitB:sgprShadowLimitB+1], 0x1 // Set limit to use bytes
s_add_u32 s[sgprShadowLimitB+0], s[sgprShadowLimitB+0], 8 // extend limit for pre-pad
s_addc_u32 s[sgprShadowLimitB+1], s[sgprShadowLimitB+1], 0 // extend limit for pre-pad
s_cmp_eq_u32 s[sgprShadowLimitB+1], 0              // are we within 2^32?
s_cselect_b32 s[sgprSrdB+2], s[sgprShadowLimitB+0], BufferLimitB // Move shadow to real if we are within 2^32
s_mul_hi_u32 s33, s[sgprStrideBK], s[sgprWorkGroup2] // Stride*WG
s_mul_i32 s32, s[sgprStrideBK], s[sgprWorkGroup2]  // Stride*WG
s_add_u32 s34, s34, s32                            // accum wg term to tilestart
s_addc_u32 s35, s35, s33                           // accum wg term to tilestart
s_lshl_b64 s[34:35], s[34:35], 0x1                 // tileStart *= BPE
s_add_u32 s[sgprSrdB+0], s[sgprSrdB+0], s34        // SRD base = Address+ tileStart0
s_addc_u32 s[sgprSrdB+1], s[sgprSrdB+1], s35       // SRD base = Address+ tileStart1
s_mov_b32 s[sgprSrdB+3], Srd127_96                 // Set bits 127_96 in SRD


/* global read addresses: increments a */

s_mov_b32 s[sgprGlobalReadIncsA+0], DepthU*BpeA    // incrA (unrollIdx)


/* global read addresses: increments b */

s_mov_b32 s[sgprGlobalReadIncsB+0], DepthU*BpeB    // incrB (unrollIdx)

/* declare loop num iterations */


s_lshr_b32 s[sgprLoopCounterL], s[sgprSizesSum+0], 7 // s[sgprLoopCounterL] = s[sgprSizesSum+0] / 128
s_mov_b32 s[sgprOrigLoopCounter], s[sgprLoopCounterL] // copy loop counter

/* local read addresses: init pointers a */


/* localReadInitPointers */

/* local read addresses: init pointers b */


/* localReadInitPointers */


/* prefetch: global -> local */

s_cmp_eq_u32 s[sgprLoopCounterL], 0                // at last iteration?
s_setprio 0                                        // optimization store
s_cbranch_scc1 ShadowInitStart_10                  // skip to ShadowInitStart iter b/c numIter==0


_buffer_load_b128 v[vgprG2LA+0:vgprG2LA+0+3], v[vgprGlobalReadOffsetA+0], s[sgprSrdA:sgprSrdA+3], 0, offen offset:0 // G -> Reg 0_0_0_0
_buffer_load_b128 v[vgprG2LA+4:vgprG2LA+4+3], v[vgprGlobalReadOffsetA+0], s[sgprSrdA:sgprSrdA+3], s[sgprScalarGlobalReadOffsetA+0], offen offset:0 // G -> Reg 0_0_1_0
_buffer_load_b128 v[vgprG2LA+8:vgprG2LA+8+3], v[vgprGlobalReadOffsetA+0], s[sgprSrdA:sgprSrdA+3], s[sgprScalarGlobalReadOffsetA+1], offen offset:0 // G -> Reg 0_0_2_0
_buffer_load_b128 v[vgprG2LA+12:vgprG2LA+12+3], v[vgprGlobalReadOffsetA+0], s[sgprSrdA:sgprSrdA+3], s[sgprScalarGlobalReadOffsetA+2], offen offset:0 // G -> Reg 0_0_3_0
_buffer_load_b128 v[vgprG2LA+16:vgprG2LA+16+3], v[vgprGlobalReadOffsetA+0], s[sgprSrdA:sgprSrdA+3], s[sgprScalarGlobalReadOffsetA+3], offen offset:0 // G -> Reg 0_0_4_0
_buffer_load_b128 v[vgprG2LA+20:vgprG2LA+20+3], v[vgprGlobalReadOffsetA+0], s[sgprSrdA:sgprSrdA+3], s[sgprScalarGlobalReadOffsetA+4], offen offset:0 // G -> Reg 0_0_5_0
_buffer_load_b128 v[vgprG2LA+24:vgprG2LA+24+3], v[vgprGlobalReadOffsetA+0], s[sgprSrdA:sgprSrdA+3], s[sgprScalarGlobalReadOffsetA+5], offen offset:0 // G -> Reg 0_0_6_0
_buffer_load_b128 v[vgprG2LA+28:vgprG2LA+28+3], v[vgprGlobalReadOffsetA+0], s[sgprSrdA:sgprSrdA+3], s[sgprScalarGlobalReadOffsetA+6], offen offset:0 // G -> Reg 0_0_7_0
_buffer_load_b128 v[vgprG2LA+32:vgprG2LA+32+3], v[vgprGlobalReadOffsetA+0], s[sgprSrdA:sgprSrdA+3], s[sgprScalarGlobalReadOffsetA+7], offen offset:0 // G -> Reg 0_0_8_0
_buffer_load_b128 v[vgprG2LA+36:vgprG2LA+36+3], v[vgprGlobalReadOffsetA+0], s[sgprSrdA:sgprSrdA+3], s[sgprScalarGlobalReadOffsetA+8], offen offset:0 // G -> Reg 0_0_9_0
_buffer_load_b128 v[vgprG2LA+40:vgprG2LA+40+3], v[vgprGlobalReadOffsetA+0], s[sgprSrdA:sgprSrdA+3], s[sgprScalarGlobalReadOffsetA+9], offen offset:0 // G -> Reg 0_0_10_0
_buffer_load_b128 v[vgprG2LA+44:vgprG2LA+44+3], v[vgprGlobalReadOffsetA+0], s[sgprSrdA:sgprSrdA+3], s[sgprScalarGlobalReadOffsetA+10], offen offset:0 // G -> Reg 0_0_11_0
_buffer_load_b128 v[vgprG2LA+48:vgprG2LA+48+3], v[vgprGlobalReadOffsetA+0], s[sgprSrdA:sgprSrdA+3], s[sgprScalarGlobalReadOffsetA+11], offen offset:0 // G -> Reg 0_0_12_0
_buffer_load_b128 v[vgprG2LA+52:vgprG2LA+52+3], v[vgprGlobalReadOffsetA+0], s[sgprSrdA:sgprSrdA+3], s[sgprScalarGlobalReadOffsetA+12], offen offset:0 // G -> Reg 0_0_13_0
_buffer_load_b128 v[vgprG2LA+56:vgprG2LA+56+3], v[vgprGlobalReadOffsetA+0], s[sgprSrdA:sgprSrdA+3], s[sgprScalarGlobalReadOffsetA+13], offen offset:0 // G -> Reg 0_0_14_0
_buffer_load_b128 v[vgprG2LA+60:vgprG2LA+60+3], v[vgprGlobalReadOffsetA+0], s[sgprSrdA:sgprSrdA+3], s[sgprScalarGlobalReadOffsetA+14], offen offset:0 // G -> Reg 0_0_15_0


_buffer_load_b64 v[vgprG2LB+0:vgprG2LB+0+1], v[vgprGlobalReadOffsetB+0], s[sgprSrdB:sgprSrdB+3], 0, offen offset:0 // G -> Reg 0_0_0_0


/* global read inc A loopL */
s_add_u32 s[sgprSrdA+0], s[sgprSrdA+0], s[sgprGlobalReadIncsA+0] // gra SRD += inc(lower)
s_addc_u32  s[sgprSrdA+1], s[sgprSrdA+1], 0        // gra SRD += inc(upper)
s_sub_u32 s[sgprShadowLimitA+0], s[sgprShadowLimitA+0], s[sgprGlobalReadIncsA+0] // limit -= inc)
s_subb_u32 s[sgprShadowLimitA+1], s[sgprShadowLimitA+1], 0 // limit -= inc)
s_cmp_eq_u32 s[sgprShadowLimitA+1], 0              // are we within 2^32?
s_cmov_b32 s[sgprSrdA+2], s[sgprShadowLimitA+0]    // Move shadow to real if we are within 2^32

/* global read inc B loopL */
s_add_u32 s[sgprSrdB+0], s[sgprSrdB+0], s[sgprGlobalReadIncsB+0] // gra SRD += inc(lower)
s_addc_u32  s[sgprSrdB+1], s[sgprSrdB+1], 0        // gra SRD += inc(upper)
s_sub_u32 s[sgprShadowLimitB+0], s[sgprShadowLimitB+0], s[sgprGlobalReadIncsB+0] // limit -= inc)
s_subb_u32 s[sgprShadowLimitB+1], s[sgprShadowLimitB+1], 0 // limit -= inc)
s_cmp_eq_u32 s[sgprShadowLimitB+1], 0              // are we within 2^32?
s_cmov_b32 s[sgprSrdB+2], s[sgprShadowLimitB+0]    // Move shadow to real if we are within 2^32


/******************************************/
/* End setupNewTile, isPap=False             */
/******************************************/

ShadowInitStart_10: // 

s_mov_b32 s[sgprSrdD+2], BufferOOB                 // 
s_mov_b32 s[sgprSrdD+3], Srd127_96                 // Set bits 127_96 in post-loop SRD

s_mov_b32 s[sgprSrdC+2], BufferOOB                 // 
s_mov_b32 s[sgprSrdC+3], Srd127_96                 // Set bits 127_96 in post-loop SRD


s_mul_i32 s34, MT1, s[sgprWorkGroup1]              // <- wg1*MT1
s_mul_hi_u32 s33, s34, s[sgprStrideC1J]            // CScale s34 by Stride
s_mul_i32 s32, s34, s[sgprStrideC1J]               // CScale s34 by Stride
s_lshl_b64 s[32:33], s[32:33], 1                   // scale by bpe
s_add_u32 s[sgprSrdC+0], s[sgprSrdC+0], s32        // add lo to SRD
s_addc_u32 s[sgprSrdC+1], s[sgprSrdC+1], s33       // add hi to SRD
s_mul_hi_u32 s33, s34, s[sgprStrideD1J]            // Scale s34 by Stride
s_mul_i32 s32, s34, s[sgprStrideD1J]               // Scale s34 by Stride
s_lshl_b64 s[32:33], s[32:33], 1                   // scale by bpe
s_add_u32 s[sgprSrdD+0], s[sgprSrdD+0], s32        // add lo to SRD
s_addc_u32 s[sgprSrdD+1], s[sgprSrdD+1], s33       // add hi to SRD

s_mul_hi_u32 s33, s[sgprWorkGroup2], s[sgprStrideCK] // CScale s[sgprWorkGroup2] by Stride
s_mul_i32 s32, s[sgprWorkGroup2], s[sgprStrideCK]  // CScale s[sgprWorkGroup2] by Stride
s_lshl_b64 s[32:33], s[32:33], 1                   // scale by bpe
s_add_u32 s[sgprSrdC+0], s[sgprSrdC+0], s32        // add lo to SRD
s_addc_u32 s[sgprSrdC+1], s[sgprSrdC+1], s33       // add hi to SRD
s_mul_hi_u32 s33, s[sgprWorkGroup2], s[sgprStrideDK] // Scale s[sgprWorkGroup2] by Stride
s_mul_i32 s32, s[sgprWorkGroup2], s[sgprStrideDK]  // Scale s[sgprWorkGroup2] by Stride
s_lshl_b64 s[32:33], s[32:33], 1                   // scale by bpe
s_add_u32 s[sgprSrdD+0], s[sgprSrdD+0], s32        // add lo to SRD
s_addc_u32 s[sgprSrdD+1], s[sgprSrdD+1], s33       // add hi to SRD


	;; [unrolled: 1-line block ×3, first 2 shown]
/* initC: remove C-tile 0-0 from pool */

/* initC: remove AB-tile 0-128 from pool */
v_accvgpr_write acc0, 0x0                          // initC
v_accvgpr_write acc1, 0x0                          // initC
v_accvgpr_write acc2, 0x0                          // initC
v_accvgpr_write acc3, 0x0                          // initC

s_cmp_eq_u32 s[sgprLoopCounterL], 0                // at last iteration?

/* after InitC, skip to end of prefetch last iter if numIter==0 */
s_cbranch_scc0 label_NoBranch_11                   // Only branch on scc1
s_getpc_B64 s[32:33]                               // addr of next instr
s_add_i32 s34, PrefetchGlobalLastIterEnd_5, 0x4    // target branch offset
s_add_u32 s32, s32, s34                            // add target branch offset
s_addc_u32 s33, s33, 0                             // add high and carry
s_setpc_b64 s[32:33]                               // branch to PrefetchGlobalLastIterEnd_5
label_NoBranch_11:

s_waitcnt vmcnt(0)                                 // lgkmcnt=-1 vmcnt=0 8wait for global read


/* local write a */
_ds_store_b128 v[vgprLocalWriteAddrA], v[vgprG2LA+0:vgprG2LA+0+3] offset:0 // lwoA_0_0_0_0 = (0*LSCA)*(MT0I+PAD) + (0*LSPA) = 0
_ds_store_b128 v[vgprLocalWriteAddrA], v[vgprG2LA+4:vgprG2LA+4+3] offset:2176 // lwoA_0_0_1_0 = (0*LSCA)*(MT0I+PAD) + (1*LSPA) = 2176
_ds_store_b128 v[vgprLocalWriteAddrA], v[vgprG2LA+8:vgprG2LA+8+3] offset:4352 // lwoA_0_0_2_0 = (0*LSCA)*(MT0I+PAD) + (2*LSPA) = 4352
_ds_store_b128 v[vgprLocalWriteAddrA], v[vgprG2LA+12:vgprG2LA+12+3] offset:6528 // lwoA_0_0_3_0 = (0*LSCA)*(MT0I+PAD) + (3*LSPA) = 6528
_ds_store_b128 v[vgprLocalWriteAddrA], v[vgprG2LA+16:vgprG2LA+16+3] offset:8704 // lwoA_0_0_4_0 = (0*LSCA)*(MT0I+PAD) + (4*LSPA) = 8704
_ds_store_b128 v[vgprLocalWriteAddrA], v[vgprG2LA+20:vgprG2LA+20+3] offset:10880 // lwoA_0_0_5_0 = (0*LSCA)*(MT0I+PAD) + (5*LSPA) = 10880
_ds_store_b128 v[vgprLocalWriteAddrA], v[vgprG2LA+24:vgprG2LA+24+3] offset:13056 // lwoA_0_0_6_0 = (0*LSCA)*(MT0I+PAD) + (6*LSPA) = 13056
_ds_store_b128 v[vgprLocalWriteAddrA], v[vgprG2LA+28:vgprG2LA+28+3] offset:15232 // lwoA_0_0_7_0 = (0*LSCA)*(MT0I+PAD) + (7*LSPA) = 15232
_ds_store_b128 v[vgprLocalWriteAddrA], v[vgprG2LA+32:vgprG2LA+32+3] offset:17408 // lwoA_0_0_8_0 = (0*LSCA)*(MT0I+PAD) + (8*LSPA) = 17408
_ds_store_b128 v[vgprLocalWriteAddrA], v[vgprG2LA+36:vgprG2LA+36+3] offset:19584 // lwoA_0_0_9_0 = (0*LSCA)*(MT0I+PAD) + (9*LSPA) = 19584
_ds_store_b128 v[vgprLocalWriteAddrA], v[vgprG2LA+40:vgprG2LA+40+3] offset:21760 // lwoA_0_0_10_0 = (0*LSCA)*(MT0I+PAD) + (10*LSPA) = 21760
_ds_store_b128 v[vgprLocalWriteAddrA], v[vgprG2LA+44:vgprG2LA+44+3] offset:23936 // lwoA_0_0_11_0 = (0*LSCA)*(MT0I+PAD) + (11*LSPA) = 23936
_ds_store_b128 v[vgprLocalWriteAddrA], v[vgprG2LA+48:vgprG2LA+48+3] offset:26112 // lwoA_0_0_12_0 = (0*LSCA)*(MT0I+PAD) + (12*LSPA) = 26112
_ds_store_b128 v[vgprLocalWriteAddrA], v[vgprG2LA+52:vgprG2LA+52+3] offset:28288 // lwoA_0_0_13_0 = (0*LSCA)*(MT0I+PAD) + (13*LSPA) = 28288
_ds_store_b128 v[vgprLocalWriteAddrA], v[vgprG2LA+56:vgprG2LA+56+3] offset:30464 // lwoA_0_0_14_0 = (0*LSCA)*(MT0I+PAD) + (14*LSPA) = 30464
_ds_store_b128 v[vgprLocalWriteAddrA], v[vgprG2LA+60:vgprG2LA+60+3] offset:32640 // lwoA_0_0_15_0 = (0*LSCA)*(MT0I+PAD) + (15*LSPA) = 32640

/* local write b */
_ds_store_b64 v[vgprLocalWriteAddrB], v[vgprG2LB+0:vgprG2LB+0+1] offset:0 // lwoB_0_0_0_0 = (0*LSCB)*(MT1J+PAD) + (0*LSPB) = 0


/* local write swap a */


	;; [unrolled: 1-line block ×3, first 2 shown]
/* local write swap b */


	;; [unrolled: 1-line block ×4, first 2 shown]
s_waitcnt lgkmcnt(0)                               // lgkmcnt=0 vmcnt=-10prefetch wait for local write

s_waitcnt lgkmcnt(0) & vmcnt(0)                    // force waitcnt0
s_barrier //


/* local read prefetch a */

_ds_load_b128 v[vgprValuA_X0_I0+0:vgprValuA_X0_I0+0+3], v[vgprLocalReadAddrA] offset:0 // L -> Reg lro=0 swapByteOffset=0 ti=128 vIdx=0 rIdx=0 oIdx=0 buffer=0 iui=0


/* local read prefetch b */

_ds_load_b128 v[vgprValuB_X0_I0+0:vgprValuB_X0_I0+0+3], v[vgprLocalReadAddrB] offset:0 // L -> Reg lro=0 swapByteOffset=0 ti=4 vIdx=0 rIdx=0 oIdx=0 buffer=0 iui=0


/* local read inc a */

/* N/A, lro->8 */
/* self.localReadDoCntA 1 self.localReadDoCntB 1 */


/* local read inc b */

/* N/A, lro->8 */
/* self.localReadDoCntA 1 self.localReadDoCntB 1 */


	;; [unrolled: 1-line block ×3, first 2 shown]
/******************************************/
/* Unrolled Loop(s) - Begin               */
/******************************************/

openLoopL_12:
s_cmp_le_u32 s[sgprLoopCounterL], 0x1              // LoopCounterL < EndCounter
s_cbranch_scc1 LoopEndL_2                          // do not enter LoopL
LoopBeginL_1:


/******************************************/
/* Unrolled Loop 1/2 - Begin              */
/******************************************/

label_0013: // LoopCopy1 


/* Begin Each Unroll: Check VGPR.checkin for INT8 LW */


	;; [unrolled: 1-line block ×3, first 2 shown]
/* iter 0 */

/*  grEndMfmaIndex:16, lwStartMfmaIndex:25, lwEndMfmaIndex:25  */
/*  numMfmaForLR:0, barrierMfmaIndex:31 */
/*  mfmaIndex:0  */
_ds_load_b128 v[vgprValuA_X2_I0+0:vgprValuA_X2_I0+0+3], v[vgprLocalReadAddrA] offset:16 // L -> Reg lro=8 swapByteOffset=0 ti=128 vIdx=0 rIdx=0 oIdx=0 buffer=2 iui=0
_ds_load_b128 v[vgprValuB_X2_I0+0:vgprValuB_X2_I0+0+3], v[vgprLocalReadAddrB] offset:16 // L -> Reg lro=8 swapByteOffset=0 ti=4 vIdx=0 rIdx=0 oIdx=0 buffer=2 iui=0
_buffer_load_b128 v[vgprG2LA+0:vgprG2LA+0+3], v[vgprGlobalReadOffsetA+0], s[sgprSrdA:sgprSrdA+3], 0, offen offset:0 // G -> Reg 0_0_0_0
s_waitcnt lgkmcnt(2)                               // lgkmcnt=0 vmcnt=-1wait for prior local read local write old=0, new=2 newLW=0 newLR=2
v_mfma_f32_4x4x4bf16_1k a[0+0:3+0], v[vgprValuA_X0_I0+0+0+0:vgprValuA_X0_I0+0+0+0+1], v[vgprValuB_X0_I0+0+0+0:vgprValuB_X0_I0+0+0+0+1], a[0:3]
/* numPrefetchIter=0 */
/* dataAtIterA=-1 numReadsIterA=1 skipReadsIterA=1 readsPerIterA=1 */
/* dataAtIterB=-1 numReadsIterB=1 skipReadsIterB=1 readsPerIterB=1 */


/* iter 1 */

/*  grEndMfmaIndex:16, lwStartMfmaIndex:25, lwEndMfmaIndex:25  */
/*  numMfmaForLR:0, barrierMfmaIndex:31 */
/*  mfmaIndex:1  */
_ds_load_b128 v[vgprValuA_X4_I0+0:vgprValuA_X4_I0+0+3], v[vgprLocalReadAddrA] offset:32 // L -> Reg lro=16 swapByteOffset=0 ti=128 vIdx=0 rIdx=0 oIdx=0 buffer=4 iui=0
_ds_load_b128 v[vgprValuB_X4_I0+0:vgprValuB_X4_I0+0+3], v[vgprLocalReadAddrB] offset:32 // L -> Reg lro=16 swapByteOffset=0 ti=4 vIdx=0 rIdx=0 oIdx=0 buffer=4 iui=0
_buffer_load_b128 v[vgprG2LA+4:vgprG2LA+4+3], v[vgprGlobalReadOffsetA+0], s[sgprSrdA:sgprSrdA+3], s[sgprScalarGlobalReadOffsetA+0], offen offset:0 // G -> Reg 0_0_1_0
s_waitcnt lgkmcnt(4)                               // lgkmcnt=0 vmcnt=-1wait for prior local read local write old=0, new=4 newLW=0 newLR=4
v_mfma_f32_4x4x4bf16_1k a[0+0:3+0], v[vgprValuA_X0_I0+0+2+0:vgprValuA_X0_I0+0+2+0+1], v[vgprValuB_X0_I0+0+2+0:vgprValuB_X0_I0+0+2+0+1], a[0:3]
/* numPrefetchIter=0 */
/* dataAtIterA=-1 numReadsIterA=2 skipReadsIterA=2 readsPerIterA=1 */
/* dataAtIterB=-1 numReadsIterB=2 skipReadsIterB=2 readsPerIterB=1 */


/* iter 2 */

/*  grEndMfmaIndex:16, lwStartMfmaIndex:25, lwEndMfmaIndex:25  */
/*  numMfmaForLR:0, barrierMfmaIndex:31 */
/*  mfmaIndex:2  */
_ds_load_b128 v[vgprValuA_X6_I0+0:vgprValuA_X6_I0+0+3], v[vgprLocalReadAddrA] offset:48 // L -> Reg lro=24 swapByteOffset=0 ti=128 vIdx=0 rIdx=0 oIdx=0 buffer=6 iui=0
_ds_load_b128 v[vgprValuB_X6_I0+0:vgprValuB_X6_I0+0+3], v[vgprLocalReadAddrB] offset:48 // L -> Reg lro=24 swapByteOffset=0 ti=4 vIdx=0 rIdx=0 oIdx=0 buffer=6 iui=0
_buffer_load_b128 v[vgprG2LA+8:vgprG2LA+8+3], v[vgprGlobalReadOffsetA+0], s[sgprSrdA:sgprSrdA+3], s[sgprScalarGlobalReadOffsetA+1], offen offset:0 // G -> Reg 0_0_2_0
s_waitcnt lgkmcnt(4)                               // lgkmcnt=0 vmcnt=-1wait for prior local read local write old=0, new=4 newLW=0 newLR=4
v_mfma_f32_4x4x4bf16_1k a[0+0:3+0], v[vgprValuA_X2_I0+0+0+0:vgprValuA_X2_I0+0+0+0+1], v[vgprValuB_X2_I0+0+0+0:vgprValuB_X2_I0+0+0+0+1], a[0:3]
/* numPrefetchIter=0 */
/* dataAtIterA=0 numReadsIterA=3 skipReadsIterA=2 readsPerIterA=1 */
/* dataAtIterB=0 numReadsIterB=3 skipReadsIterB=2 readsPerIterB=1 */


/* iter 3 */

/*  grEndMfmaIndex:16, lwStartMfmaIndex:25, lwEndMfmaIndex:25  */
/*  numMfmaForLR:0, barrierMfmaIndex:31 */
/*  mfmaIndex:3  */
_ds_load_b128 v[vgprValuA_X8_I0+0:vgprValuA_X8_I0+0+3], v[vgprLocalReadAddrA] offset:64 // L -> Reg lro=32 swapByteOffset=0 ti=128 vIdx=0 rIdx=0 oIdx=0 buffer=8 iui=0
_ds_load_b128 v[vgprValuB_X8_I0+0:vgprValuB_X8_I0+0+3], v[vgprLocalReadAddrB] offset:64 // L -> Reg lro=32 swapByteOffset=0 ti=4 vIdx=0 rIdx=0 oIdx=0 buffer=8 iui=0
_buffer_load_b128 v[vgprG2LA+12:vgprG2LA+12+3], v[vgprGlobalReadOffsetA+0], s[sgprSrdA:sgprSrdA+3], s[sgprScalarGlobalReadOffsetA+2], offen offset:0 // G -> Reg 0_0_3_0
s_waitcnt lgkmcnt(6)                               // lgkmcnt=0 vmcnt=-1wait for prior local read local write old=0, new=6 newLW=0 newLR=6
v_mfma_f32_4x4x4bf16_1k a[0+0:3+0], v[vgprValuA_X2_I0+0+2+0:vgprValuA_X2_I0+0+2+0+1], v[vgprValuB_X2_I0+0+2+0:vgprValuB_X2_I0+0+2+0+1], a[0:3]
/* numPrefetchIter=0 */
/* dataAtIterA=0 numReadsIterA=4 skipReadsIterA=3 readsPerIterA=1 */
/* dataAtIterB=0 numReadsIterB=4 skipReadsIterB=3 readsPerIterB=1 */


/* iter 4 */

/*  grEndMfmaIndex:16, lwStartMfmaIndex:25, lwEndMfmaIndex:25  */
/*  numMfmaForLR:0, barrierMfmaIndex:31 */
/*  mfmaIndex:4  */
_ds_load_b128 v[vgprValuA_X10_I0+0:vgprValuA_X10_I0+0+3], v[vgprLocalReadAddrA] offset:80 // L -> Reg lro=40 swapByteOffset=0 ti=128 vIdx=0 rIdx=0 oIdx=0 buffer=10 iui=0
_ds_load_b128 v[vgprValuB_X10_I0+0:vgprValuB_X10_I0+0+3], v[vgprLocalReadAddrB] offset:80 // L -> Reg lro=40 swapByteOffset=0 ti=4 vIdx=0 rIdx=0 oIdx=0 buffer=10 iui=0
_buffer_load_b128 v[vgprG2LA+16:vgprG2LA+16+3], v[vgprGlobalReadOffsetA+0], s[sgprSrdA:sgprSrdA+3], s[sgprScalarGlobalReadOffsetA+3], offen offset:0 // G -> Reg 0_0_4_0
s_waitcnt lgkmcnt(6)                               // lgkmcnt=0 vmcnt=-1wait for prior local read local write old=0, new=6 newLW=0 newLR=6
v_mfma_f32_4x4x4bf16_1k a[0+0:3+0], v[vgprValuA_X4_I0+0+0+0:vgprValuA_X4_I0+0+0+0+1], v[vgprValuB_X4_I0+0+0+0:vgprValuB_X4_I0+0+0+0+1], a[0:3]
/* numPrefetchIter=0 */
/* dataAtIterA=1 numReadsIterA=5 skipReadsIterA=3 readsPerIterA=1 */
/* dataAtIterB=1 numReadsIterB=5 skipReadsIterB=3 readsPerIterB=1 */


/* iter 5 */

/*  grEndMfmaIndex:16, lwStartMfmaIndex:25, lwEndMfmaIndex:25  */
/*  numMfmaForLR:0, barrierMfmaIndex:31 */
/*  mfmaIndex:5  */
_ds_load_b128 v[vgprValuA_X12_I0+0:vgprValuA_X12_I0+0+3], v[vgprLocalReadAddrA] offset:96 // L -> Reg lro=48 swapByteOffset=0 ti=128 vIdx=0 rIdx=0 oIdx=0 buffer=12 iui=0
_ds_load_b128 v[vgprValuB_X12_I0+0:vgprValuB_X12_I0+0+3], v[vgprLocalReadAddrB] offset:96 // L -> Reg lro=48 swapByteOffset=0 ti=4 vIdx=0 rIdx=0 oIdx=0 buffer=12 iui=0
_buffer_load_b128 v[vgprG2LA+20:vgprG2LA+20+3], v[vgprGlobalReadOffsetA+0], s[sgprSrdA:sgprSrdA+3], s[sgprScalarGlobalReadOffsetA+4], offen offset:0 // G -> Reg 0_0_5_0
s_waitcnt lgkmcnt(8)                               // lgkmcnt=0 vmcnt=-1wait for prior local read local write old=0, new=8 newLW=0 newLR=8
v_mfma_f32_4x4x4bf16_1k a[0+0:3+0], v[vgprValuA_X4_I0+0+2+0:vgprValuA_X4_I0+0+2+0+1], v[vgprValuB_X4_I0+0+2+0:vgprValuB_X4_I0+0+2+0+1], a[0:3]
/* numPrefetchIter=0 */
/* dataAtIterA=1 numReadsIterA=6 skipReadsIterA=4 readsPerIterA=1 */
/* dataAtIterB=1 numReadsIterB=6 skipReadsIterB=4 readsPerIterB=1 */


/* iter 6 */

/*  grEndMfmaIndex:16, lwStartMfmaIndex:25, lwEndMfmaIndex:25  */
/*  numMfmaForLR:0, barrierMfmaIndex:31 */
/*  mfmaIndex:6  */
_ds_load_b128 v[vgprValuA_X14_I0+0:vgprValuA_X14_I0+0+3], v[vgprLocalReadAddrA] offset:112 // L -> Reg lro=56 swapByteOffset=0 ti=128 vIdx=0 rIdx=0 oIdx=0 buffer=14 iui=0
_ds_load_b128 v[vgprValuB_X14_I0+0:vgprValuB_X14_I0+0+3], v[vgprLocalReadAddrB] offset:112 // L -> Reg lro=56 swapByteOffset=0 ti=4 vIdx=0 rIdx=0 oIdx=0 buffer=14 iui=0
_buffer_load_b128 v[vgprG2LA+24:vgprG2LA+24+3], v[vgprGlobalReadOffsetA+0], s[sgprSrdA:sgprSrdA+3], s[sgprScalarGlobalReadOffsetA+5], offen offset:0 // G -> Reg 0_0_6_0
s_waitcnt lgkmcnt(8)                               // lgkmcnt=0 vmcnt=-1wait for prior local read local write old=0, new=8 newLW=0 newLR=8
v_mfma_f32_4x4x4bf16_1k a[0+0:3+0], v[vgprValuA_X6_I0+0+0+0:vgprValuA_X6_I0+0+0+0+1], v[vgprValuB_X6_I0+0+0+0:vgprValuB_X6_I0+0+0+0+1], a[0:3]
/* numPrefetchIter=0 */
/* dataAtIterA=2 numReadsIterA=7 skipReadsIterA=4 readsPerIterA=1 */
/* dataAtIterB=2 numReadsIterB=7 skipReadsIterB=4 readsPerIterB=1 */


/* iter 7 */

/*  grEndMfmaIndex:16, lwStartMfmaIndex:25, lwEndMfmaIndex:25  */
/*  numMfmaForLR:0, barrierMfmaIndex:31 */
/*  mfmaIndex:7  */
_ds_load_b128 v[vgprValuA_X16_I0+0:vgprValuA_X16_I0+0+3], v[vgprLocalReadAddrA] offset:128 // L -> Reg lro=64 swapByteOffset=0 ti=128 vIdx=0 rIdx=0 oIdx=0 buffer=16 iui=0
_ds_load_b128 v[vgprValuB_X16_I0+0:vgprValuB_X16_I0+0+3], v[vgprLocalReadAddrB] offset:128 // L -> Reg lro=64 swapByteOffset=0 ti=4 vIdx=0 rIdx=0 oIdx=0 buffer=16 iui=0
_buffer_load_b128 v[vgprG2LA+28:vgprG2LA+28+3], v[vgprGlobalReadOffsetA+0], s[sgprSrdA:sgprSrdA+3], s[sgprScalarGlobalReadOffsetA+6], offen offset:0 // G -> Reg 0_0_7_0
s_waitcnt lgkmcnt(10)                              // lgkmcnt=0 vmcnt=-1wait for prior local read local write old=0, new=10 newLW=0 newLR=10
v_mfma_f32_4x4x4bf16_1k a[0+0:3+0], v[vgprValuA_X6_I0+0+2+0:vgprValuA_X6_I0+0+2+0+1], v[vgprValuB_X6_I0+0+2+0:vgprValuB_X6_I0+0+2+0+1], a[0:3]
/* numPrefetchIter=0 */
/* dataAtIterA=2 numReadsIterA=8 skipReadsIterA=5 readsPerIterA=1 */
/* dataAtIterB=2 numReadsIterB=8 skipReadsIterB=5 readsPerIterB=1 */


/* iter 8 */

/*  grEndMfmaIndex:16, lwStartMfmaIndex:25, lwEndMfmaIndex:25  */
/*  numMfmaForLR:0, barrierMfmaIndex:31 */
/*  mfmaIndex:8  */
_ds_load_b128 v[vgprValuA_X18_I0+0:vgprValuA_X18_I0+0+3], v[vgprLocalReadAddrA] offset:144 // L -> Reg lro=72 swapByteOffset=0 ti=128 vIdx=0 rIdx=0 oIdx=0 buffer=18 iui=0
_ds_load_b128 v[vgprValuB_X18_I0+0:vgprValuB_X18_I0+0+3], v[vgprLocalReadAddrB] offset:144 // L -> Reg lro=72 swapByteOffset=0 ti=4 vIdx=0 rIdx=0 oIdx=0 buffer=18 iui=0
_buffer_load_b128 v[vgprG2LA+32:vgprG2LA+32+3], v[vgprGlobalReadOffsetA+0], s[sgprSrdA:sgprSrdA+3], s[sgprScalarGlobalReadOffsetA+7], offen offset:0 // G -> Reg 0_0_8_0
s_waitcnt lgkmcnt(10)                              // lgkmcnt=0 vmcnt=-1wait for prior local read local write old=0, new=10 newLW=0 newLR=10
v_mfma_f32_4x4x4bf16_1k a[0+0:3+0], v[vgprValuA_X8_I0+0+0+0:vgprValuA_X8_I0+0+0+0+1], v[vgprValuB_X8_I0+0+0+0:vgprValuB_X8_I0+0+0+0+1], a[0:3]
/* numPrefetchIter=0 */
/* dataAtIterA=3 numReadsIterA=9 skipReadsIterA=5 readsPerIterA=1 */
/* dataAtIterB=3 numReadsIterB=9 skipReadsIterB=5 readsPerIterB=1 */


/* iter 9 */

/*  grEndMfmaIndex:16, lwStartMfmaIndex:25, lwEndMfmaIndex:25  */
/*  numMfmaForLR:0, barrierMfmaIndex:31 */
/*  mfmaIndex:9  */
_ds_load_b128 v[vgprValuA_X20_I0+0:vgprValuA_X20_I0+0+3], v[vgprLocalReadAddrA] offset:160 // L -> Reg lro=80 swapByteOffset=0 ti=128 vIdx=0 rIdx=0 oIdx=0 buffer=20 iui=0
_ds_load_b128 v[vgprValuB_X20_I0+0:vgprValuB_X20_I0+0+3], v[vgprLocalReadAddrB] offset:160 // L -> Reg lro=80 swapByteOffset=0 ti=4 vIdx=0 rIdx=0 oIdx=0 buffer=20 iui=0
_buffer_load_b128 v[vgprG2LA+36:vgprG2LA+36+3], v[vgprGlobalReadOffsetA+0], s[sgprSrdA:sgprSrdA+3], s[sgprScalarGlobalReadOffsetA+8], offen offset:0 // G -> Reg 0_0_9_0
s_waitcnt lgkmcnt(12)                              // lgkmcnt=0 vmcnt=-1wait for prior local read local write old=0, new=12 newLW=0 newLR=12
v_mfma_f32_4x4x4bf16_1k a[0+0:3+0], v[vgprValuA_X8_I0+0+2+0:vgprValuA_X8_I0+0+2+0+1], v[vgprValuB_X8_I0+0+2+0:vgprValuB_X8_I0+0+2+0+1], a[0:3]
/* numPrefetchIter=0 */
/* dataAtIterA=3 numReadsIterA=10 skipReadsIterA=6 readsPerIterA=1 */
/* dataAtIterB=3 numReadsIterB=10 skipReadsIterB=6 readsPerIterB=1 */


/* iter 10 */

/*  grEndMfmaIndex:16, lwStartMfmaIndex:25, lwEndMfmaIndex:25  */
/*  numMfmaForLR:0, barrierMfmaIndex:31 */
/*  mfmaIndex:10  */
_ds_load_b128 v[vgprValuA_X22_I0+0:vgprValuA_X22_I0+0+3], v[vgprLocalReadAddrA] offset:176 // L -> Reg lro=88 swapByteOffset=0 ti=128 vIdx=0 rIdx=0 oIdx=0 buffer=22 iui=0
_ds_load_b128 v[vgprValuB_X22_I0+0:vgprValuB_X22_I0+0+3], v[vgprLocalReadAddrB] offset:176 // L -> Reg lro=88 swapByteOffset=0 ti=4 vIdx=0 rIdx=0 oIdx=0 buffer=22 iui=0
_buffer_load_b128 v[vgprG2LA+40:vgprG2LA+40+3], v[vgprGlobalReadOffsetA+0], s[sgprSrdA:sgprSrdA+3], s[sgprScalarGlobalReadOffsetA+9], offen offset:0 // G -> Reg 0_0_10_0
s_waitcnt lgkmcnt(12)                              // lgkmcnt=0 vmcnt=-1wait for prior local read local write old=0, new=12 newLW=0 newLR=12
v_mfma_f32_4x4x4bf16_1k a[0+0:3+0], v[vgprValuA_X10_I0+0+0+0:vgprValuA_X10_I0+0+0+0+1], v[vgprValuB_X10_I0+0+0+0:vgprValuB_X10_I0+0+0+0+1], a[0:3]
/* numPrefetchIter=0 */
/* dataAtIterA=4 numReadsIterA=11 skipReadsIterA=6 readsPerIterA=1 */
/* dataAtIterB=4 numReadsIterB=11 skipReadsIterB=6 readsPerIterB=1 */


/* iter 11 */

/*  grEndMfmaIndex:16, lwStartMfmaIndex:25, lwEndMfmaIndex:25  */
/*  numMfmaForLR:0, barrierMfmaIndex:31 */
/*  mfmaIndex:11  */
_ds_load_b128 v[vgprValuA_X24_I0+0:vgprValuA_X24_I0+0+3], v[vgprLocalReadAddrA] offset:192 // L -> Reg lro=96 swapByteOffset=0 ti=128 vIdx=0 rIdx=0 oIdx=0 buffer=24 iui=0
_ds_load_b128 v[vgprValuB_X24_I0+0:vgprValuB_X24_I0+0+3], v[vgprLocalReadAddrB] offset:192 // L -> Reg lro=96 swapByteOffset=0 ti=4 vIdx=0 rIdx=0 oIdx=0 buffer=24 iui=0
_buffer_load_b128 v[vgprG2LA+44:vgprG2LA+44+3], v[vgprGlobalReadOffsetA+0], s[sgprSrdA:sgprSrdA+3], s[sgprScalarGlobalReadOffsetA+10], offen offset:0 // G -> Reg 0_0_11_0
s_waitcnt lgkmcnt(14)                              // lgkmcnt=0 vmcnt=-1wait for prior local read local write old=0, new=14 newLW=0 newLR=14
v_mfma_f32_4x4x4bf16_1k a[0+0:3+0], v[vgprValuA_X10_I0+0+2+0:vgprValuA_X10_I0+0+2+0+1], v[vgprValuB_X10_I0+0+2+0:vgprValuB_X10_I0+0+2+0+1], a[0:3]
/* numPrefetchIter=0 */
/* dataAtIterA=4 numReadsIterA=12 skipReadsIterA=7 readsPerIterA=1 */
/* dataAtIterB=4 numReadsIterB=12 skipReadsIterB=7 readsPerIterB=1 */


/* iter 12 */

/*  grEndMfmaIndex:16, lwStartMfmaIndex:25, lwEndMfmaIndex:25  */
/*  numMfmaForLR:0, barrierMfmaIndex:31 */
/*  mfmaIndex:12  */
_ds_load_b128 v[vgprValuA_X26_I0+0:vgprValuA_X26_I0+0+3], v[vgprLocalReadAddrA] offset:208 // L -> Reg lro=104 swapByteOffset=0 ti=128 vIdx=0 rIdx=0 oIdx=0 buffer=26 iui=0
_ds_load_b128 v[vgprValuB_X26_I0+0:vgprValuB_X26_I0+0+3], v[vgprLocalReadAddrB] offset:208 // L -> Reg lro=104 swapByteOffset=0 ti=4 vIdx=0 rIdx=0 oIdx=0 buffer=26 iui=0
_buffer_load_b128 v[vgprG2LA+48:vgprG2LA+48+3], v[vgprGlobalReadOffsetA+0], s[sgprSrdA:sgprSrdA+3], s[sgprScalarGlobalReadOffsetA+11], offen offset:0 // G -> Reg 0_0_12_0
s_waitcnt lgkmcnt(14)                              // lgkmcnt=0 vmcnt=-1wait for prior local read local write old=0, new=14 newLW=0 newLR=14
v_mfma_f32_4x4x4bf16_1k a[0+0:3+0], v[vgprValuA_X12_I0+0+0+0:vgprValuA_X12_I0+0+0+0+1], v[vgprValuB_X12_I0+0+0+0:vgprValuB_X12_I0+0+0+0+1], a[0:3]
/* numPrefetchIter=0 */
/* dataAtIterA=5 numReadsIterA=13 skipReadsIterA=7 readsPerIterA=1 */
/* dataAtIterB=5 numReadsIterB=13 skipReadsIterB=7 readsPerIterB=1 */


/* iter 13 */

/*  grEndMfmaIndex:16, lwStartMfmaIndex:25, lwEndMfmaIndex:25  */
/*  numMfmaForLR:0, barrierMfmaIndex:31 */
/*  mfmaIndex:13  */
_ds_load_b128 v[vgprValuA_X28_I0+0:vgprValuA_X28_I0+0+3], v[vgprLocalReadAddrA] offset:224 // L -> Reg lro=112 swapByteOffset=0 ti=128 vIdx=0 rIdx=0 oIdx=0 buffer=28 iui=0
_ds_load_b128 v[vgprValuB_X28_I0+0:vgprValuB_X28_I0+0+3], v[vgprLocalReadAddrB] offset:224 // L -> Reg lro=112 swapByteOffset=0 ti=4 vIdx=0 rIdx=0 oIdx=0 buffer=28 iui=0
_buffer_load_b128 v[vgprG2LA+52:vgprG2LA+52+3], v[vgprGlobalReadOffsetA+0], s[sgprSrdA:sgprSrdA+3], s[sgprScalarGlobalReadOffsetA+12], offen offset:0 // G -> Reg 0_0_13_0
s_waitcnt lgkmcnt(15)                              // lgkmcnt=0 vmcnt=-1wait for prior local read local write old=0, new=16 newLW=0 newLR=16
v_mfma_f32_4x4x4bf16_1k a[0+0:3+0], v[vgprValuA_X12_I0+0+2+0:vgprValuA_X12_I0+0+2+0+1], v[vgprValuB_X12_I0+0+2+0:vgprValuB_X12_I0+0+2+0+1], a[0:3]
/* numPrefetchIter=0 */
/* dataAtIterA=5 numReadsIterA=14 skipReadsIterA=8 readsPerIterA=1 */
/* dataAtIterB=5 numReadsIterB=14 skipReadsIterB=8 readsPerIterB=1 */


/* iter 14 */

/*  grEndMfmaIndex:16, lwStartMfmaIndex:25, lwEndMfmaIndex:25  */
/*  numMfmaForLR:0, barrierMfmaIndex:31 */
/*  mfmaIndex:14  */
_ds_load_b128 v[vgprValuA_X30_I0+0:vgprValuA_X30_I0+0+3], v[vgprLocalReadAddrA] offset:240 // L -> Reg lro=120 swapByteOffset=0 ti=128 vIdx=0 rIdx=0 oIdx=0 buffer=30 iui=0
_ds_load_b128 v[vgprValuB_X30_I0+0:vgprValuB_X30_I0+0+3], v[vgprLocalReadAddrB] offset:240 // L -> Reg lro=120 swapByteOffset=0 ti=4 vIdx=0 rIdx=0 oIdx=0 buffer=30 iui=0
_buffer_load_b128 v[vgprG2LA+56:vgprG2LA+56+3], v[vgprGlobalReadOffsetA+0], s[sgprSrdA:sgprSrdA+3], s[sgprScalarGlobalReadOffsetA+13], offen offset:0 // G -> Reg 0_0_14_0
s_waitcnt lgkmcnt(15)                              // lgkmcnt=0 vmcnt=-1wait for prior local read local write old=0, new=16 newLW=0 newLR=16
v_mfma_f32_4x4x4bf16_1k a[0+0:3+0], v[vgprValuA_X14_I0+0+0+0:vgprValuA_X14_I0+0+0+0+1], v[vgprValuB_X14_I0+0+0+0:vgprValuB_X14_I0+0+0+0+1], a[0:3]
/* numPrefetchIter=0 */
/* dataAtIterA=6 numReadsIterA=15 skipReadsIterA=8 readsPerIterA=1 */
/* dataAtIterB=6 numReadsIterB=15 skipReadsIterB=8 readsPerIterB=1 */


/* iter 15 */

/*  grEndMfmaIndex:16, lwStartMfmaIndex:25, lwEndMfmaIndex:25  */
/*  numMfmaForLR:0, barrierMfmaIndex:31 */
/*  mfmaIndex:15  */
/* localReadsVacancy: latencyLeft 1 */
_buffer_load_b128 v[vgprG2LA+60:vgprG2LA+60+3], v[vgprGlobalReadOffsetA+0], s[sgprSrdA:sgprSrdA+3], s[sgprScalarGlobalReadOffsetA+14], offen offset:0 // G -> Reg 0_0_15_0
s_waitcnt lgkmcnt(15)                              // lgkmcnt=0 vmcnt=-1wait for prior local read local write old=0, new=16 newLW=0 newLR=16
v_mfma_f32_4x4x4bf16_1k a[0+0:3+0], v[vgprValuA_X14_I0+0+2+0:vgprValuA_X14_I0+0+2+0+1], v[vgprValuB_X14_I0+0+2+0:vgprValuB_X14_I0+0+2+0+1], a[0:3]
/* numPrefetchIter=0 */
/* dataAtIterA=6 numReadsIterA=15 skipReadsIterA=8 readsPerIterA=1 */
/* dataAtIterB=6 numReadsIterB=15 skipReadsIterB=8 readsPerIterB=1 */


/* iter 16 */

/*  grEndMfmaIndex:16, lwStartMfmaIndex:25, lwEndMfmaIndex:25  */
/*  numMfmaForLR:0, barrierMfmaIndex:31 */
/*  mfmaIndex:16  */
/* localReadsVacancy: latencyLeft 1 */
_buffer_load_b64 v[vgprG2LB+0:vgprG2LB+0+1], v[vgprGlobalReadOffsetB+0], s[sgprSrdB:sgprSrdB+3], 0, offen offset:0 // G -> Reg 0_0_0_0
s_waitcnt lgkmcnt(14)                              // lgkmcnt=0 vmcnt=-1wait for prior local read local write old=0, new=14 newLW=0 newLR=14
v_mfma_f32_4x4x4bf16_1k a[0+0:3+0], v[vgprValuA_X16_I0+0+0+0:vgprValuA_X16_I0+0+0+0+1], v[vgprValuB_X16_I0+0+0+0:vgprValuB_X16_I0+0+0+0+1], a[0:3]
/* numPrefetchIter=0 */
/* dataAtIterA=7 numReadsIterA=15 skipReadsIterA=7 readsPerIterA=1 */
/* dataAtIterB=7 numReadsIterB=15 skipReadsIterB=7 readsPerIterB=1 */


/* iter 17 */

/*  grEndMfmaIndex:16, lwStartMfmaIndex:25, lwEndMfmaIndex:25  */
/*  numMfmaForLR:0, barrierMfmaIndex:31 */
/*  mfmaIndex:17  */
/* localReadsVacancy: latencyLeft 1 */

/* global read inc A loopL */
s_add_u32 s[sgprSrdA+0], s[sgprSrdA+0], s[sgprGlobalReadIncsA+0] // gra SRD += inc(lower)
s_waitcnt lgkmcnt(14)                              // lgkmcnt=0 vmcnt=-1wait for prior local read local write old=0, new=14 newLW=0 newLR=14
v_mfma_f32_4x4x4bf16_1k a[0+0:3+0], v[vgprValuA_X16_I0+0+2+0:vgprValuA_X16_I0+0+2+0+1], v[vgprValuB_X16_I0+0+2+0:vgprValuB_X16_I0+0+2+0+1], a[0:3]
/* numPrefetchIter=0 */
/* dataAtIterA=7 numReadsIterA=15 skipReadsIterA=7 readsPerIterA=1 */
/* dataAtIterB=7 numReadsIterB=15 skipReadsIterB=7 readsPerIterB=1 */


/* iter 18 */

/*  grEndMfmaIndex:16, lwStartMfmaIndex:25, lwEndMfmaIndex:25  */
/*  numMfmaForLR:0, barrierMfmaIndex:31 */
/*  mfmaIndex:18  */
/* localReadsVacancy: latencyLeft 1 */
s_addc_u32  s[sgprSrdA+1], s[sgprSrdA+1], 0        // gra SRD += inc(upper)
s_waitcnt lgkmcnt(12)                              // lgkmcnt=0 vmcnt=-1wait for prior local read local write old=0, new=12 newLW=0 newLR=12
v_mfma_f32_4x4x4bf16_1k a[0+0:3+0], v[vgprValuA_X18_I0+0+0+0:vgprValuA_X18_I0+0+0+0+1], v[vgprValuB_X18_I0+0+0+0:vgprValuB_X18_I0+0+0+0+1], a[0:3]
/* numPrefetchIter=0 */
/* dataAtIterA=8 numReadsIterA=15 skipReadsIterA=6 readsPerIterA=1 */
/* dataAtIterB=8 numReadsIterB=15 skipReadsIterB=6 readsPerIterB=1 */


/* iter 19 */

/*  grEndMfmaIndex:16, lwStartMfmaIndex:25, lwEndMfmaIndex:25  */
/*  numMfmaForLR:0, barrierMfmaIndex:31 */
/*  mfmaIndex:19  */
/* localReadsVacancy: latencyLeft 1 */
s_sub_u32 s[sgprShadowLimitA+0], s[sgprShadowLimitA+0], s[sgprGlobalReadIncsA+0] // limit -= inc)
s_waitcnt lgkmcnt(12)                              // lgkmcnt=0 vmcnt=-1wait for prior local read local write old=0, new=12 newLW=0 newLR=12
v_mfma_f32_4x4x4bf16_1k a[0+0:3+0], v[vgprValuA_X18_I0+0+2+0:vgprValuA_X18_I0+0+2+0+1], v[vgprValuB_X18_I0+0+2+0:vgprValuB_X18_I0+0+2+0+1], a[0:3]
/* numPrefetchIter=0 */
/* dataAtIterA=8 numReadsIterA=15 skipReadsIterA=6 readsPerIterA=1 */
/* dataAtIterB=8 numReadsIterB=15 skipReadsIterB=6 readsPerIterB=1 */


/* iter 20 */

/*  grEndMfmaIndex:16, lwStartMfmaIndex:25, lwEndMfmaIndex:25  */
/*  numMfmaForLR:0, barrierMfmaIndex:31 */
/*  mfmaIndex:20  */
/* localReadsVacancy: latencyLeft 1 */
s_subb_u32 s[sgprShadowLimitA+1], s[sgprShadowLimitA+1], 0 // limit -= inc)
s_waitcnt lgkmcnt(10)                              // lgkmcnt=0 vmcnt=-1wait for prior local read local write old=0, new=10 newLW=0 newLR=10
v_mfma_f32_4x4x4bf16_1k a[0+0:3+0], v[vgprValuA_X20_I0+0+0+0:vgprValuA_X20_I0+0+0+0+1], v[vgprValuB_X20_I0+0+0+0:vgprValuB_X20_I0+0+0+0+1], a[0:3]
/* numPrefetchIter=0 */
/* dataAtIterA=9 numReadsIterA=15 skipReadsIterA=5 readsPerIterA=1 */
/* dataAtIterB=9 numReadsIterB=15 skipReadsIterB=5 readsPerIterB=1 */


/* iter 21 */

/*  grEndMfmaIndex:16, lwStartMfmaIndex:25, lwEndMfmaIndex:25  */
/*  numMfmaForLR:0, barrierMfmaIndex:31 */
/*  mfmaIndex:21  */
/* localReadsVacancy: latencyLeft 1 */
s_cmp_eq_u32 s[sgprShadowLimitA+1], 0              // are we within 2^32?
s_waitcnt lgkmcnt(10)                              // lgkmcnt=0 vmcnt=-1wait for prior local read local write old=0, new=10 newLW=0 newLR=10
v_mfma_f32_4x4x4bf16_1k a[0+0:3+0], v[vgprValuA_X20_I0+0+2+0:vgprValuA_X20_I0+0+2+0+1], v[vgprValuB_X20_I0+0+2+0:vgprValuB_X20_I0+0+2+0+1], a[0:3]
/* numPrefetchIter=0 */
/* dataAtIterA=9 numReadsIterA=15 skipReadsIterA=5 readsPerIterA=1 */
/* dataAtIterB=9 numReadsIterB=15 skipReadsIterB=5 readsPerIterB=1 */


/* iter 22 */

/*  grEndMfmaIndex:16, lwStartMfmaIndex:25, lwEndMfmaIndex:25  */
/*  numMfmaForLR:0, barrierMfmaIndex:31 */
/*  mfmaIndex:22  */
/* localReadsVacancy: latencyLeft 1 */
s_cmov_b32 s[sgprSrdA+2], s[sgprShadowLimitA+0]    // Move shadow to real if we are within 2^32
s_waitcnt lgkmcnt(8)                               // lgkmcnt=0 vmcnt=-1wait for prior local read local write old=0, new=8 newLW=0 newLR=8
v_mfma_f32_4x4x4bf16_1k a[0+0:3+0], v[vgprValuA_X22_I0+0+0+0:vgprValuA_X22_I0+0+0+0+1], v[vgprValuB_X22_I0+0+0+0:vgprValuB_X22_I0+0+0+0+1], a[0:3]
/* numPrefetchIter=0 */
/* dataAtIterA=10 numReadsIterA=15 skipReadsIterA=4 readsPerIterA=1 */
/* dataAtIterB=10 numReadsIterB=15 skipReadsIterB=4 readsPerIterB=1 */


/* iter 23 */

/*  grEndMfmaIndex:16, lwStartMfmaIndex:25, lwEndMfmaIndex:25  */
/*  numMfmaForLR:0, barrierMfmaIndex:31 */
/*  mfmaIndex:23  */
/* localReadsVacancy: latencyLeft 1 */

/* global read inc B loopL */
s_add_u32 s[sgprSrdB+0], s[sgprSrdB+0], s[sgprGlobalReadIncsB+0] // gra SRD += inc(lower)
s_waitcnt lgkmcnt(8)                               // lgkmcnt=0 vmcnt=-1wait for prior local read local write old=0, new=8 newLW=0 newLR=8
v_mfma_f32_4x4x4bf16_1k a[0+0:3+0], v[vgprValuA_X22_I0+0+2+0:vgprValuA_X22_I0+0+2+0+1], v[vgprValuB_X22_I0+0+2+0:vgprValuB_X22_I0+0+2+0+1], a[0:3]
/* numPrefetchIter=0 */
/* dataAtIterA=10 numReadsIterA=15 skipReadsIterA=4 readsPerIterA=1 */
/* dataAtIterB=10 numReadsIterB=15 skipReadsIterB=4 readsPerIterB=1 */


/* iter 24 */

/*  grEndMfmaIndex:16, lwStartMfmaIndex:25, lwEndMfmaIndex:25  */
/*  numMfmaForLR:0, barrierMfmaIndex:31 */
/*  mfmaIndex:24  */
/* localReadsVacancy: latencyLeft 1 */
s_addc_u32  s[sgprSrdB+1], s[sgprSrdB+1], 0        // gra SRD += inc(upper)
/* 1 LDS buffer: read-sync-write */
s_waitcnt lgkmcnt(0)                               // 
s_barrier                                          // 
s_waitcnt lgkmcnt(6)                               // lgkmcnt=0 vmcnt=-1wait for prior local read local write old=0, new=6 newLW=0 newLR=6
v_mfma_f32_4x4x4bf16_1k a[0+0:3+0], v[vgprValuA_X24_I0+0+0+0:vgprValuA_X24_I0+0+0+0+1], v[vgprValuB_X24_I0+0+0+0:vgprValuB_X24_I0+0+0+0+1], a[0:3]
/* numPrefetchIter=0 */
/* dataAtIterA=11 numReadsIterA=15 skipReadsIterA=3 readsPerIterA=1 */
/* dataAtIterB=11 numReadsIterB=15 skipReadsIterB=3 readsPerIterB=1 */


/* iter 25 (swap and reset local write pointers iteration)  */

/*  grEndMfmaIndex:16, lwStartMfmaIndex:25, lwEndMfmaIndex:25  */
/*  numMfmaForLR:0, barrierMfmaIndex:31 */
/*  mfmaIndex:25  */
s_sub_u32 s[sgprShadowLimitB+0], s[sgprShadowLimitB+0], s[sgprGlobalReadIncsB+0] // limit -= inc)
/* sched write - iter 25 writesPerItem=1 */
s_waitcnt vmcnt(0)                                 // lgkmcnt=-1 vmcnt=0wait for global read before writing to local
_ds_store_b128 v[vgprLocalWriteAddrA], v[vgprG2LA+0:vgprG2LA+0+3] offset:0 // lwoA_0_0_0_0 = (0*LSCA)*(MT0I+PAD) + (0*LSPA) = 0
/* sched write - iter 25 writesPerItem=1 */
s_waitcnt vmcnt(0)                                 // lgkmcnt=-1 vmcnt=0wait for global read before writing to local
_ds_store_b128 v[vgprLocalWriteAddrA], v[vgprG2LA+4:vgprG2LA+4+3] offset:2176 // lwoA_0_0_1_0 = (0*LSCA)*(MT0I+PAD) + (1*LSPA) = 2176
/* sched write - iter 25 writesPerItem=1 */
s_waitcnt vmcnt(0)                                 // lgkmcnt=-1 vmcnt=0wait for global read before writing to local
_ds_store_b128 v[vgprLocalWriteAddrA], v[vgprG2LA+8:vgprG2LA+8+3] offset:4352 // lwoA_0_0_2_0 = (0*LSCA)*(MT0I+PAD) + (2*LSPA) = 4352
/* sched write - iter 25 writesPerItem=1 */
s_waitcnt vmcnt(0)                                 // lgkmcnt=-1 vmcnt=0wait for global read before writing to local
_ds_store_b128 v[vgprLocalWriteAddrA], v[vgprG2LA+12:vgprG2LA+12+3] offset:6528 // lwoA_0_0_3_0 = (0*LSCA)*(MT0I+PAD) + (3*LSPA) = 6528
/* sched write - iter 25 writesPerItem=1 */
s_waitcnt vmcnt(0)                                 // lgkmcnt=-1 vmcnt=0wait for global read before writing to local
_ds_store_b128 v[vgprLocalWriteAddrA], v[vgprG2LA+16:vgprG2LA+16+3] offset:8704 // lwoA_0_0_4_0 = (0*LSCA)*(MT0I+PAD) + (4*LSPA) = 8704
/* sched write - iter 25 writesPerItem=1 */
s_waitcnt vmcnt(0)                                 // lgkmcnt=-1 vmcnt=0wait for global read before writing to local
_ds_store_b128 v[vgprLocalWriteAddrA], v[vgprG2LA+20:vgprG2LA+20+3] offset:10880 // lwoA_0_0_5_0 = (0*LSCA)*(MT0I+PAD) + (5*LSPA) = 10880
/* sched write - iter 25 writesPerItem=1 */
s_waitcnt vmcnt(0)                                 // lgkmcnt=-1 vmcnt=0wait for global read before writing to local
_ds_store_b128 v[vgprLocalWriteAddrA], v[vgprG2LA+24:vgprG2LA+24+3] offset:13056 // lwoA_0_0_6_0 = (0*LSCA)*(MT0I+PAD) + (6*LSPA) = 13056
/* sched write - iter 25 writesPerItem=1 */
s_waitcnt vmcnt(0)                                 // lgkmcnt=-1 vmcnt=0wait for global read before writing to local
_ds_store_b128 v[vgprLocalWriteAddrA], v[vgprG2LA+28:vgprG2LA+28+3] offset:15232 // lwoA_0_0_7_0 = (0*LSCA)*(MT0I+PAD) + (7*LSPA) = 15232
/* sched write - iter 25 writesPerItem=1 */
s_waitcnt vmcnt(0)                                 // lgkmcnt=-1 vmcnt=0wait for global read before writing to local
_ds_store_b128 v[vgprLocalWriteAddrA], v[vgprG2LA+32:vgprG2LA+32+3] offset:17408 // lwoA_0_0_8_0 = (0*LSCA)*(MT0I+PAD) + (8*LSPA) = 17408
/* sched write - iter 25 writesPerItem=1 */
s_waitcnt vmcnt(0)                                 // lgkmcnt=-1 vmcnt=0wait for global read before writing to local
_ds_store_b128 v[vgprLocalWriteAddrA], v[vgprG2LA+36:vgprG2LA+36+3] offset:19584 // lwoA_0_0_9_0 = (0*LSCA)*(MT0I+PAD) + (9*LSPA) = 19584
/* sched write - iter 25 writesPerItem=1 */
s_waitcnt vmcnt(0)                                 // lgkmcnt=-1 vmcnt=0wait for global read before writing to local
_ds_store_b128 v[vgprLocalWriteAddrA], v[vgprG2LA+40:vgprG2LA+40+3] offset:21760 // lwoA_0_0_10_0 = (0*LSCA)*(MT0I+PAD) + (10*LSPA) = 21760
/* sched write - iter 25 writesPerItem=1 */
s_waitcnt vmcnt(0)                                 // lgkmcnt=-1 vmcnt=0wait for global read before writing to local
_ds_store_b128 v[vgprLocalWriteAddrA], v[vgprG2LA+44:vgprG2LA+44+3] offset:23936 // lwoA_0_0_11_0 = (0*LSCA)*(MT0I+PAD) + (11*LSPA) = 23936
/* sched write - iter 25 writesPerItem=1 */
s_waitcnt vmcnt(0)                                 // lgkmcnt=-1 vmcnt=0wait for global read before writing to local
_ds_store_b128 v[vgprLocalWriteAddrA], v[vgprG2LA+48:vgprG2LA+48+3] offset:26112 // lwoA_0_0_12_0 = (0*LSCA)*(MT0I+PAD) + (12*LSPA) = 26112
/* sched write - iter 25 writesPerItem=1 */
s_waitcnt vmcnt(0)                                 // lgkmcnt=-1 vmcnt=0wait for global read before writing to local
_ds_store_b128 v[vgprLocalWriteAddrA], v[vgprG2LA+52:vgprG2LA+52+3] offset:28288 // lwoA_0_0_13_0 = (0*LSCA)*(MT0I+PAD) + (13*LSPA) = 28288
/* sched write - iter 25 writesPerItem=1 */
s_waitcnt vmcnt(0)                                 // lgkmcnt=-1 vmcnt=0wait for global read before writing to local
_ds_store_b128 v[vgprLocalWriteAddrA], v[vgprG2LA+56:vgprG2LA+56+3] offset:30464 // lwoA_0_0_14_0 = (0*LSCA)*(MT0I+PAD) + (14*LSPA) = 30464
/* sched write - iter 25 writesPerItem=1 */
s_waitcnt vmcnt(0)                                 // lgkmcnt=-1 vmcnt=0wait for global read before writing to local
_ds_store_b128 v[vgprLocalWriteAddrA], v[vgprG2LA+60:vgprG2LA+60+3] offset:32640 // lwoA_0_0_15_0 = (0*LSCA)*(MT0I+PAD) + (15*LSPA) = 32640
/* sched write - iter 25 writesPerItem=1 */
s_waitcnt vmcnt(0)                                 // lgkmcnt=-1 vmcnt=0wait for global read before writing to local
_ds_store_b64 v[vgprLocalWriteAddrB], v[vgprG2LB+0:vgprG2LB+0+1] offset:0 // lwoB_0_0_0_0 = (0*LSCB)*(MT1J+PAD) + (0*LSPB) = 0

/* local write swap offsets a */

/* local write swap offsets b */
s_waitcnt lgkmcnt(15)                              // lgkmcnt=0 vmcnt=-1wait for prior local read local write old=0, new=23 newLW=17 newLR=6
v_mfma_f32_4x4x4bf16_1k a[0+0:3+0], v[vgprValuA_X24_I0+0+2+0:vgprValuA_X24_I0+0+2+0+1], v[vgprValuB_X24_I0+0+2+0:vgprValuB_X24_I0+0+2+0+1], a[0:3]
/* numPrefetchIter=0 */
/* dataAtIterA=11 numReadsIterA=15 skipReadsIterA=3 readsPerIterA=1 */
/* dataAtIterB=11 numReadsIterB=15 skipReadsIterB=3 readsPerIterB=1 */


/* iter 26 */

/*  grEndMfmaIndex:16, lwStartMfmaIndex:25, lwEndMfmaIndex:25  */
/*  numMfmaForLR:0, barrierMfmaIndex:31 */
/*  mfmaIndex:26  */
s_subb_u32 s[sgprShadowLimitB+1], s[sgprShadowLimitB+1], 0 // limit -= inc)
v_mfma_f32_4x4x4bf16_1k a[0+0:3+0], v[vgprValuA_X26_I0+0+0+0:vgprValuA_X26_I0+0+0+0+1], v[vgprValuB_X26_I0+0+0+0:vgprValuB_X26_I0+0+0+0+1], a[0:3]


/* iter 27 */

/*  grEndMfmaIndex:16, lwStartMfmaIndex:25, lwEndMfmaIndex:25  */
/*  numMfmaForLR:0, barrierMfmaIndex:31 */
/*  mfmaIndex:27  */
s_cmp_eq_u32 s[sgprShadowLimitB+1], 0              // are we within 2^32?
v_mfma_f32_4x4x4bf16_1k a[0+0:3+0], v[vgprValuA_X26_I0+0+2+0:vgprValuA_X26_I0+0+2+0+1], v[vgprValuB_X26_I0+0+2+0:vgprValuB_X26_I0+0+2+0+1], a[0:3]


/* iter 28 */

/*  grEndMfmaIndex:16, lwStartMfmaIndex:25, lwEndMfmaIndex:25  */
/*  numMfmaForLR:0, barrierMfmaIndex:31 */
/*  mfmaIndex:28  */
s_cmov_b32 s[sgprSrdB+2], s[sgprShadowLimitB+0]    // Move shadow to real if we are within 2^32
v_mfma_f32_4x4x4bf16_1k a[0+0:3+0], v[vgprValuA_X28_I0+0+0+0:vgprValuA_X28_I0+0+0+0+1], v[vgprValuB_X28_I0+0+0+0:vgprValuB_X28_I0+0+0+0+1], a[0:3]


/* iter 29 */

/*  grEndMfmaIndex:16, lwStartMfmaIndex:25, lwEndMfmaIndex:25  */
/*  numMfmaForLR:0, barrierMfmaIndex:31 */
/*  mfmaIndex:29  */
v_mfma_f32_4x4x4bf16_1k a[0+0:3+0], v[vgprValuA_X28_I0+0+2+0:vgprValuA_X28_I0+0+2+0+1], v[vgprValuB_X28_I0+0+2+0:vgprValuB_X28_I0+0+2+0+1], a[0:3]


/* iter 30 (reset local read pointers iteration)  (swap local read pointers iteration)  */

/*  grEndMfmaIndex:16, lwStartMfmaIndex:25, lwEndMfmaIndex:25  */
/*  numMfmaForLR:0, barrierMfmaIndex:31 */
/*  mfmaIndex:30  */

/* local read swap offsets a */

/* local read swap offsets b */

/* local read init pointers a */

/* localReadInitPointers */

/* local read init pointers b */

/* localReadInitPointers */
v_mfma_f32_4x4x4bf16_1k a[0+0:3+0], v[vgprValuA_X30_I0+0+0+0:vgprValuA_X30_I0+0+0+0+1], v[vgprValuB_X30_I0+0+0+0:vgprValuB_X30_I0+0+0+0+1], a[0:3]


/* iter 31 */

/*  grEndMfmaIndex:16, lwStartMfmaIndex:25, lwEndMfmaIndex:25  */
/*  numMfmaForLR:0, barrierMfmaIndex:31 */
/*  mfmaIndex:31  */
s_waitcnt lgkmcnt(0)                               // lgkmcnt=0 vmcnt=-13wait for local write
s_waitcnt lgkmcnt(0) & vmcnt(0)                    // force waitcnt0
s_barrier //
_ds_load_b128 v[vgprValuA_X0_I0+0:vgprValuA_X0_I0+0+3], v[vgprLocalReadAddrA] offset:0 // L -> Reg lro=0 swapByteOffset=0 ti=128 vIdx=0 rIdx=0 oIdx=0 buffer=0 iui=0
_ds_load_b128 v[vgprValuB_X0_I0+0:vgprValuB_X0_I0+0+3], v[vgprLocalReadAddrB] offset:0 // L -> Reg lro=0 swapByteOffset=0 ti=4 vIdx=0 rIdx=0 oIdx=0 buffer=0 iui=0
v_mfma_f32_4x4x4bf16_1k a[0+0:3+0], v[vgprValuA_X30_I0+0+2+0:vgprValuA_X30_I0+0+2+0+1], v[vgprValuB_X30_I0+0+2+0:vgprValuB_X30_I0+0+2+0+1], a[0:3]


/******************************************/
/* Unrolled Loop - End 1/2                */
/******************************************/


/* closeLoop loopL finalLoop=0 tailLoop=0 */
s_sub_u32 s[sgprLoopCounterL], s[sgprLoopCounterL], 1 // dec counterL
s_cmp_eq_i32 s[sgprLoopCounterL], 0x1              // counterL==1
s_cbranch_scc1 LoopEndL_oddexit_3                  // exit LoopL


/******************************************/
/* Unrolled Loop 2/2 - Begin              */
/******************************************/

label_0014: // LoopCopy2 


/* Begin Each Unroll: Check VGPR.checkin for INT8 LW */



/* iter 0 */

/*  grEndMfmaIndex:16, lwStartMfmaIndex:25, lwEndMfmaIndex:25  */
/*  numMfmaForLR:0, barrierMfmaIndex:31 */
/*  mfmaIndex:0  */
_ds_load_b128 v[vgprValuA_X2_I0+0:vgprValuA_X2_I0+0+3], v[vgprLocalReadAddrA] offset:16 // L -> Reg lro=8 swapByteOffset=0 ti=128 vIdx=0 rIdx=0 oIdx=0 buffer=2 iui=0
_ds_load_b128 v[vgprValuB_X2_I0+0:vgprValuB_X2_I0+0+3], v[vgprLocalReadAddrB] offset:16 // L -> Reg lro=8 swapByteOffset=0 ti=4 vIdx=0 rIdx=0 oIdx=0 buffer=2 iui=0
_buffer_load_b128 v[vgprG2LA+0:vgprG2LA+0+3], v[vgprGlobalReadOffsetA+0], s[sgprSrdA:sgprSrdA+3], 0, offen offset:0 // G -> Reg 0_0_0_0
s_waitcnt lgkmcnt(2)                               // lgkmcnt=0 vmcnt=-1wait for prior local read local write old=0, new=2 newLW=0 newLR=2
v_mfma_f32_4x4x4bf16_1k a[0+0:3+0], v[vgprValuA_X0_I0+0+0+0:vgprValuA_X0_I0+0+0+0+1], v[vgprValuB_X0_I0+0+0+0:vgprValuB_X0_I0+0+0+0+1], a[0:3]
/* numPrefetchIter=0 */
/* dataAtIterA=-1 numReadsIterA=1 skipReadsIterA=1 readsPerIterA=1 */
/* dataAtIterB=-1 numReadsIterB=1 skipReadsIterB=1 readsPerIterB=1 */


/* iter 1 */

/*  grEndMfmaIndex:16, lwStartMfmaIndex:25, lwEndMfmaIndex:25  */
/*  numMfmaForLR:0, barrierMfmaIndex:31 */
/*  mfmaIndex:1  */
_ds_load_b128 v[vgprValuA_X4_I0+0:vgprValuA_X4_I0+0+3], v[vgprLocalReadAddrA] offset:32 // L -> Reg lro=16 swapByteOffset=0 ti=128 vIdx=0 rIdx=0 oIdx=0 buffer=4 iui=0
_ds_load_b128 v[vgprValuB_X4_I0+0:vgprValuB_X4_I0+0+3], v[vgprLocalReadAddrB] offset:32 // L -> Reg lro=16 swapByteOffset=0 ti=4 vIdx=0 rIdx=0 oIdx=0 buffer=4 iui=0
_buffer_load_b128 v[vgprG2LA+4:vgprG2LA+4+3], v[vgprGlobalReadOffsetA+0], s[sgprSrdA:sgprSrdA+3], s[sgprScalarGlobalReadOffsetA+0], offen offset:0 // G -> Reg 0_0_1_0
s_waitcnt lgkmcnt(4)                               // lgkmcnt=0 vmcnt=-1wait for prior local read local write old=0, new=4 newLW=0 newLR=4
v_mfma_f32_4x4x4bf16_1k a[0+0:3+0], v[vgprValuA_X0_I0+0+2+0:vgprValuA_X0_I0+0+2+0+1], v[vgprValuB_X0_I0+0+2+0:vgprValuB_X0_I0+0+2+0+1], a[0:3]
/* numPrefetchIter=0 */
/* dataAtIterA=-1 numReadsIterA=2 skipReadsIterA=2 readsPerIterA=1 */
/* dataAtIterB=-1 numReadsIterB=2 skipReadsIterB=2 readsPerIterB=1 */


/* iter 2 */

/*  grEndMfmaIndex:16, lwStartMfmaIndex:25, lwEndMfmaIndex:25  */
/*  numMfmaForLR:0, barrierMfmaIndex:31 */
/*  mfmaIndex:2  */
_ds_load_b128 v[vgprValuA_X6_I0+0:vgprValuA_X6_I0+0+3], v[vgprLocalReadAddrA] offset:48 // L -> Reg lro=24 swapByteOffset=0 ti=128 vIdx=0 rIdx=0 oIdx=0 buffer=6 iui=0
_ds_load_b128 v[vgprValuB_X6_I0+0:vgprValuB_X6_I0+0+3], v[vgprLocalReadAddrB] offset:48 // L -> Reg lro=24 swapByteOffset=0 ti=4 vIdx=0 rIdx=0 oIdx=0 buffer=6 iui=0
_buffer_load_b128 v[vgprG2LA+8:vgprG2LA+8+3], v[vgprGlobalReadOffsetA+0], s[sgprSrdA:sgprSrdA+3], s[sgprScalarGlobalReadOffsetA+1], offen offset:0 // G -> Reg 0_0_2_0
s_waitcnt lgkmcnt(4)                               // lgkmcnt=0 vmcnt=-1wait for prior local read local write old=0, new=4 newLW=0 newLR=4
v_mfma_f32_4x4x4bf16_1k a[0+0:3+0], v[vgprValuA_X2_I0+0+0+0:vgprValuA_X2_I0+0+0+0+1], v[vgprValuB_X2_I0+0+0+0:vgprValuB_X2_I0+0+0+0+1], a[0:3]
/* numPrefetchIter=0 */
/* dataAtIterA=0 numReadsIterA=3 skipReadsIterA=2 readsPerIterA=1 */
/* dataAtIterB=0 numReadsIterB=3 skipReadsIterB=2 readsPerIterB=1 */


/* iter 3 */

/*  grEndMfmaIndex:16, lwStartMfmaIndex:25, lwEndMfmaIndex:25  */
/*  numMfmaForLR:0, barrierMfmaIndex:31 */
/*  mfmaIndex:3  */
_ds_load_b128 v[vgprValuA_X8_I0+0:vgprValuA_X8_I0+0+3], v[vgprLocalReadAddrA] offset:64 // L -> Reg lro=32 swapByteOffset=0 ti=128 vIdx=0 rIdx=0 oIdx=0 buffer=8 iui=0
_ds_load_b128 v[vgprValuB_X8_I0+0:vgprValuB_X8_I0+0+3], v[vgprLocalReadAddrB] offset:64 // L -> Reg lro=32 swapByteOffset=0 ti=4 vIdx=0 rIdx=0 oIdx=0 buffer=8 iui=0
_buffer_load_b128 v[vgprG2LA+12:vgprG2LA+12+3], v[vgprGlobalReadOffsetA+0], s[sgprSrdA:sgprSrdA+3], s[sgprScalarGlobalReadOffsetA+2], offen offset:0 // G -> Reg 0_0_3_0
s_waitcnt lgkmcnt(6)                               // lgkmcnt=0 vmcnt=-1wait for prior local read local write old=0, new=6 newLW=0 newLR=6
v_mfma_f32_4x4x4bf16_1k a[0+0:3+0], v[vgprValuA_X2_I0+0+2+0:vgprValuA_X2_I0+0+2+0+1], v[vgprValuB_X2_I0+0+2+0:vgprValuB_X2_I0+0+2+0+1], a[0:3]
/* numPrefetchIter=0 */
/* dataAtIterA=0 numReadsIterA=4 skipReadsIterA=3 readsPerIterA=1 */
/* dataAtIterB=0 numReadsIterB=4 skipReadsIterB=3 readsPerIterB=1 */


/* iter 4 */

/*  grEndMfmaIndex:16, lwStartMfmaIndex:25, lwEndMfmaIndex:25  */
/*  numMfmaForLR:0, barrierMfmaIndex:31 */
/*  mfmaIndex:4  */
_ds_load_b128 v[vgprValuA_X10_I0+0:vgprValuA_X10_I0+0+3], v[vgprLocalReadAddrA] offset:80 // L -> Reg lro=40 swapByteOffset=0 ti=128 vIdx=0 rIdx=0 oIdx=0 buffer=10 iui=0
_ds_load_b128 v[vgprValuB_X10_I0+0:vgprValuB_X10_I0+0+3], v[vgprLocalReadAddrB] offset:80 // L -> Reg lro=40 swapByteOffset=0 ti=4 vIdx=0 rIdx=0 oIdx=0 buffer=10 iui=0
_buffer_load_b128 v[vgprG2LA+16:vgprG2LA+16+3], v[vgprGlobalReadOffsetA+0], s[sgprSrdA:sgprSrdA+3], s[sgprScalarGlobalReadOffsetA+3], offen offset:0 // G -> Reg 0_0_4_0
s_waitcnt lgkmcnt(6)                               // lgkmcnt=0 vmcnt=-1wait for prior local read local write old=0, new=6 newLW=0 newLR=6
v_mfma_f32_4x4x4bf16_1k a[0+0:3+0], v[vgprValuA_X4_I0+0+0+0:vgprValuA_X4_I0+0+0+0+1], v[vgprValuB_X4_I0+0+0+0:vgprValuB_X4_I0+0+0+0+1], a[0:3]
/* numPrefetchIter=0 */
/* dataAtIterA=1 numReadsIterA=5 skipReadsIterA=3 readsPerIterA=1 */
/* dataAtIterB=1 numReadsIterB=5 skipReadsIterB=3 readsPerIterB=1 */


/* iter 5 */

/*  grEndMfmaIndex:16, lwStartMfmaIndex:25, lwEndMfmaIndex:25  */
/*  numMfmaForLR:0, barrierMfmaIndex:31 */
/*  mfmaIndex:5  */
_ds_load_b128 v[vgprValuA_X12_I0+0:vgprValuA_X12_I0+0+3], v[vgprLocalReadAddrA] offset:96 // L -> Reg lro=48 swapByteOffset=0 ti=128 vIdx=0 rIdx=0 oIdx=0 buffer=12 iui=0
_ds_load_b128 v[vgprValuB_X12_I0+0:vgprValuB_X12_I0+0+3], v[vgprLocalReadAddrB] offset:96 // L -> Reg lro=48 swapByteOffset=0 ti=4 vIdx=0 rIdx=0 oIdx=0 buffer=12 iui=0
_buffer_load_b128 v[vgprG2LA+20:vgprG2LA+20+3], v[vgprGlobalReadOffsetA+0], s[sgprSrdA:sgprSrdA+3], s[sgprScalarGlobalReadOffsetA+4], offen offset:0 // G -> Reg 0_0_5_0
s_waitcnt lgkmcnt(8)                               // lgkmcnt=0 vmcnt=-1wait for prior local read local write old=0, new=8 newLW=0 newLR=8
v_mfma_f32_4x4x4bf16_1k a[0+0:3+0], v[vgprValuA_X4_I0+0+2+0:vgprValuA_X4_I0+0+2+0+1], v[vgprValuB_X4_I0+0+2+0:vgprValuB_X4_I0+0+2+0+1], a[0:3]
/* numPrefetchIter=0 */
/* dataAtIterA=1 numReadsIterA=6 skipReadsIterA=4 readsPerIterA=1 */
/* dataAtIterB=1 numReadsIterB=6 skipReadsIterB=4 readsPerIterB=1 */


/* iter 6 */

/*  grEndMfmaIndex:16, lwStartMfmaIndex:25, lwEndMfmaIndex:25  */
/*  numMfmaForLR:0, barrierMfmaIndex:31 */
/*  mfmaIndex:6  */
_ds_load_b128 v[vgprValuA_X14_I0+0:vgprValuA_X14_I0+0+3], v[vgprLocalReadAddrA] offset:112 // L -> Reg lro=56 swapByteOffset=0 ti=128 vIdx=0 rIdx=0 oIdx=0 buffer=14 iui=0
_ds_load_b128 v[vgprValuB_X14_I0+0:vgprValuB_X14_I0+0+3], v[vgprLocalReadAddrB] offset:112 // L -> Reg lro=56 swapByteOffset=0 ti=4 vIdx=0 rIdx=0 oIdx=0 buffer=14 iui=0
_buffer_load_b128 v[vgprG2LA+24:vgprG2LA+24+3], v[vgprGlobalReadOffsetA+0], s[sgprSrdA:sgprSrdA+3], s[sgprScalarGlobalReadOffsetA+5], offen offset:0 // G -> Reg 0_0_6_0
s_waitcnt lgkmcnt(8)                               // lgkmcnt=0 vmcnt=-1wait for prior local read local write old=0, new=8 newLW=0 newLR=8
v_mfma_f32_4x4x4bf16_1k a[0+0:3+0], v[vgprValuA_X6_I0+0+0+0:vgprValuA_X6_I0+0+0+0+1], v[vgprValuB_X6_I0+0+0+0:vgprValuB_X6_I0+0+0+0+1], a[0:3]
/* numPrefetchIter=0 */
/* dataAtIterA=2 numReadsIterA=7 skipReadsIterA=4 readsPerIterA=1 */
/* dataAtIterB=2 numReadsIterB=7 skipReadsIterB=4 readsPerIterB=1 */


/* iter 7 */

/*  grEndMfmaIndex:16, lwStartMfmaIndex:25, lwEndMfmaIndex:25  */
/*  numMfmaForLR:0, barrierMfmaIndex:31 */
/*  mfmaIndex:7  */
_ds_load_b128 v[vgprValuA_X16_I0+0:vgprValuA_X16_I0+0+3], v[vgprLocalReadAddrA] offset:128 // L -> Reg lro=64 swapByteOffset=0 ti=128 vIdx=0 rIdx=0 oIdx=0 buffer=16 iui=0
_ds_load_b128 v[vgprValuB_X16_I0+0:vgprValuB_X16_I0+0+3], v[vgprLocalReadAddrB] offset:128 // L -> Reg lro=64 swapByteOffset=0 ti=4 vIdx=0 rIdx=0 oIdx=0 buffer=16 iui=0
_buffer_load_b128 v[vgprG2LA+28:vgprG2LA+28+3], v[vgprGlobalReadOffsetA+0], s[sgprSrdA:sgprSrdA+3], s[sgprScalarGlobalReadOffsetA+6], offen offset:0 // G -> Reg 0_0_7_0
s_waitcnt lgkmcnt(10)                              // lgkmcnt=0 vmcnt=-1wait for prior local read local write old=0, new=10 newLW=0 newLR=10
v_mfma_f32_4x4x4bf16_1k a[0+0:3+0], v[vgprValuA_X6_I0+0+2+0:vgprValuA_X6_I0+0+2+0+1], v[vgprValuB_X6_I0+0+2+0:vgprValuB_X6_I0+0+2+0+1], a[0:3]
/* numPrefetchIter=0 */
/* dataAtIterA=2 numReadsIterA=8 skipReadsIterA=5 readsPerIterA=1 */
/* dataAtIterB=2 numReadsIterB=8 skipReadsIterB=5 readsPerIterB=1 */


/* iter 8 */

/*  grEndMfmaIndex:16, lwStartMfmaIndex:25, lwEndMfmaIndex:25  */
/*  numMfmaForLR:0, barrierMfmaIndex:31 */
/*  mfmaIndex:8  */
_ds_load_b128 v[vgprValuA_X18_I0+0:vgprValuA_X18_I0+0+3], v[vgprLocalReadAddrA] offset:144 // L -> Reg lro=72 swapByteOffset=0 ti=128 vIdx=0 rIdx=0 oIdx=0 buffer=18 iui=0
_ds_load_b128 v[vgprValuB_X18_I0+0:vgprValuB_X18_I0+0+3], v[vgprLocalReadAddrB] offset:144 // L -> Reg lro=72 swapByteOffset=0 ti=4 vIdx=0 rIdx=0 oIdx=0 buffer=18 iui=0
_buffer_load_b128 v[vgprG2LA+32:vgprG2LA+32+3], v[vgprGlobalReadOffsetA+0], s[sgprSrdA:sgprSrdA+3], s[sgprScalarGlobalReadOffsetA+7], offen offset:0 // G -> Reg 0_0_8_0
s_waitcnt lgkmcnt(10)                              // lgkmcnt=0 vmcnt=-1wait for prior local read local write old=0, new=10 newLW=0 newLR=10
v_mfma_f32_4x4x4bf16_1k a[0+0:3+0], v[vgprValuA_X8_I0+0+0+0:vgprValuA_X8_I0+0+0+0+1], v[vgprValuB_X8_I0+0+0+0:vgprValuB_X8_I0+0+0+0+1], a[0:3]
/* numPrefetchIter=0 */
/* dataAtIterA=3 numReadsIterA=9 skipReadsIterA=5 readsPerIterA=1 */
/* dataAtIterB=3 numReadsIterB=9 skipReadsIterB=5 readsPerIterB=1 */


/* iter 9 */

/*  grEndMfmaIndex:16, lwStartMfmaIndex:25, lwEndMfmaIndex:25  */
/*  numMfmaForLR:0, barrierMfmaIndex:31 */
/*  mfmaIndex:9  */
_ds_load_b128 v[vgprValuA_X20_I0+0:vgprValuA_X20_I0+0+3], v[vgprLocalReadAddrA] offset:160 // L -> Reg lro=80 swapByteOffset=0 ti=128 vIdx=0 rIdx=0 oIdx=0 buffer=20 iui=0
_ds_load_b128 v[vgprValuB_X20_I0+0:vgprValuB_X20_I0+0+3], v[vgprLocalReadAddrB] offset:160 // L -> Reg lro=80 swapByteOffset=0 ti=4 vIdx=0 rIdx=0 oIdx=0 buffer=20 iui=0
_buffer_load_b128 v[vgprG2LA+36:vgprG2LA+36+3], v[vgprGlobalReadOffsetA+0], s[sgprSrdA:sgprSrdA+3], s[sgprScalarGlobalReadOffsetA+8], offen offset:0 // G -> Reg 0_0_9_0
s_waitcnt lgkmcnt(12)                              // lgkmcnt=0 vmcnt=-1wait for prior local read local write old=0, new=12 newLW=0 newLR=12
v_mfma_f32_4x4x4bf16_1k a[0+0:3+0], v[vgprValuA_X8_I0+0+2+0:vgprValuA_X8_I0+0+2+0+1], v[vgprValuB_X8_I0+0+2+0:vgprValuB_X8_I0+0+2+0+1], a[0:3]
/* numPrefetchIter=0 */
/* dataAtIterA=3 numReadsIterA=10 skipReadsIterA=6 readsPerIterA=1 */
/* dataAtIterB=3 numReadsIterB=10 skipReadsIterB=6 readsPerIterB=1 */


/* iter 10 */

/*  grEndMfmaIndex:16, lwStartMfmaIndex:25, lwEndMfmaIndex:25  */
/*  numMfmaForLR:0, barrierMfmaIndex:31 */
/*  mfmaIndex:10  */
_ds_load_b128 v[vgprValuA_X22_I0+0:vgprValuA_X22_I0+0+3], v[vgprLocalReadAddrA] offset:176 // L -> Reg lro=88 swapByteOffset=0 ti=128 vIdx=0 rIdx=0 oIdx=0 buffer=22 iui=0
_ds_load_b128 v[vgprValuB_X22_I0+0:vgprValuB_X22_I0+0+3], v[vgprLocalReadAddrB] offset:176 // L -> Reg lro=88 swapByteOffset=0 ti=4 vIdx=0 rIdx=0 oIdx=0 buffer=22 iui=0
_buffer_load_b128 v[vgprG2LA+40:vgprG2LA+40+3], v[vgprGlobalReadOffsetA+0], s[sgprSrdA:sgprSrdA+3], s[sgprScalarGlobalReadOffsetA+9], offen offset:0 // G -> Reg 0_0_10_0
s_waitcnt lgkmcnt(12)                              // lgkmcnt=0 vmcnt=-1wait for prior local read local write old=0, new=12 newLW=0 newLR=12
v_mfma_f32_4x4x4bf16_1k a[0+0:3+0], v[vgprValuA_X10_I0+0+0+0:vgprValuA_X10_I0+0+0+0+1], v[vgprValuB_X10_I0+0+0+0:vgprValuB_X10_I0+0+0+0+1], a[0:3]
/* numPrefetchIter=0 */
/* dataAtIterA=4 numReadsIterA=11 skipReadsIterA=6 readsPerIterA=1 */
/* dataAtIterB=4 numReadsIterB=11 skipReadsIterB=6 readsPerIterB=1 */


/* iter 11 */

/*  grEndMfmaIndex:16, lwStartMfmaIndex:25, lwEndMfmaIndex:25  */
/*  numMfmaForLR:0, barrierMfmaIndex:31 */
/*  mfmaIndex:11  */
_ds_load_b128 v[vgprValuA_X24_I0+0:vgprValuA_X24_I0+0+3], v[vgprLocalReadAddrA] offset:192 // L -> Reg lro=96 swapByteOffset=0 ti=128 vIdx=0 rIdx=0 oIdx=0 buffer=24 iui=0
_ds_load_b128 v[vgprValuB_X24_I0+0:vgprValuB_X24_I0+0+3], v[vgprLocalReadAddrB] offset:192 // L -> Reg lro=96 swapByteOffset=0 ti=4 vIdx=0 rIdx=0 oIdx=0 buffer=24 iui=0
_buffer_load_b128 v[vgprG2LA+44:vgprG2LA+44+3], v[vgprGlobalReadOffsetA+0], s[sgprSrdA:sgprSrdA+3], s[sgprScalarGlobalReadOffsetA+10], offen offset:0 // G -> Reg 0_0_11_0
s_waitcnt lgkmcnt(14)                              // lgkmcnt=0 vmcnt=-1wait for prior local read local write old=0, new=14 newLW=0 newLR=14
v_mfma_f32_4x4x4bf16_1k a[0+0:3+0], v[vgprValuA_X10_I0+0+2+0:vgprValuA_X10_I0+0+2+0+1], v[vgprValuB_X10_I0+0+2+0:vgprValuB_X10_I0+0+2+0+1], a[0:3]
/* numPrefetchIter=0 */
/* dataAtIterA=4 numReadsIterA=12 skipReadsIterA=7 readsPerIterA=1 */
/* dataAtIterB=4 numReadsIterB=12 skipReadsIterB=7 readsPerIterB=1 */


/* iter 12 */

/*  grEndMfmaIndex:16, lwStartMfmaIndex:25, lwEndMfmaIndex:25  */
/*  numMfmaForLR:0, barrierMfmaIndex:31 */
/*  mfmaIndex:12  */
_ds_load_b128 v[vgprValuA_X26_I0+0:vgprValuA_X26_I0+0+3], v[vgprLocalReadAddrA] offset:208 // L -> Reg lro=104 swapByteOffset=0 ti=128 vIdx=0 rIdx=0 oIdx=0 buffer=26 iui=0
_ds_load_b128 v[vgprValuB_X26_I0+0:vgprValuB_X26_I0+0+3], v[vgprLocalReadAddrB] offset:208 // L -> Reg lro=104 swapByteOffset=0 ti=4 vIdx=0 rIdx=0 oIdx=0 buffer=26 iui=0
_buffer_load_b128 v[vgprG2LA+48:vgprG2LA+48+3], v[vgprGlobalReadOffsetA+0], s[sgprSrdA:sgprSrdA+3], s[sgprScalarGlobalReadOffsetA+11], offen offset:0 // G -> Reg 0_0_12_0
s_waitcnt lgkmcnt(14)                              // lgkmcnt=0 vmcnt=-1wait for prior local read local write old=0, new=14 newLW=0 newLR=14
v_mfma_f32_4x4x4bf16_1k a[0+0:3+0], v[vgprValuA_X12_I0+0+0+0:vgprValuA_X12_I0+0+0+0+1], v[vgprValuB_X12_I0+0+0+0:vgprValuB_X12_I0+0+0+0+1], a[0:3]
/* numPrefetchIter=0 */
/* dataAtIterA=5 numReadsIterA=13 skipReadsIterA=7 readsPerIterA=1 */
/* dataAtIterB=5 numReadsIterB=13 skipReadsIterB=7 readsPerIterB=1 */


/* iter 13 */

/*  grEndMfmaIndex:16, lwStartMfmaIndex:25, lwEndMfmaIndex:25  */
/*  numMfmaForLR:0, barrierMfmaIndex:31 */
/*  mfmaIndex:13  */
_ds_load_b128 v[vgprValuA_X28_I0+0:vgprValuA_X28_I0+0+3], v[vgprLocalReadAddrA] offset:224 // L -> Reg lro=112 swapByteOffset=0 ti=128 vIdx=0 rIdx=0 oIdx=0 buffer=28 iui=0
_ds_load_b128 v[vgprValuB_X28_I0+0:vgprValuB_X28_I0+0+3], v[vgprLocalReadAddrB] offset:224 // L -> Reg lro=112 swapByteOffset=0 ti=4 vIdx=0 rIdx=0 oIdx=0 buffer=28 iui=0
_buffer_load_b128 v[vgprG2LA+52:vgprG2LA+52+3], v[vgprGlobalReadOffsetA+0], s[sgprSrdA:sgprSrdA+3], s[sgprScalarGlobalReadOffsetA+12], offen offset:0 // G -> Reg 0_0_13_0
s_waitcnt lgkmcnt(15)                              // lgkmcnt=0 vmcnt=-1wait for prior local read local write old=0, new=16 newLW=0 newLR=16
v_mfma_f32_4x4x4bf16_1k a[0+0:3+0], v[vgprValuA_X12_I0+0+2+0:vgprValuA_X12_I0+0+2+0+1], v[vgprValuB_X12_I0+0+2+0:vgprValuB_X12_I0+0+2+0+1], a[0:3]
/* numPrefetchIter=0 */
/* dataAtIterA=5 numReadsIterA=14 skipReadsIterA=8 readsPerIterA=1 */
/* dataAtIterB=5 numReadsIterB=14 skipReadsIterB=8 readsPerIterB=1 */


/* iter 14 */

/*  grEndMfmaIndex:16, lwStartMfmaIndex:25, lwEndMfmaIndex:25  */
/*  numMfmaForLR:0, barrierMfmaIndex:31 */
/*  mfmaIndex:14  */
_ds_load_b128 v[vgprValuA_X30_I0+0:vgprValuA_X30_I0+0+3], v[vgprLocalReadAddrA] offset:240 // L -> Reg lro=120 swapByteOffset=0 ti=128 vIdx=0 rIdx=0 oIdx=0 buffer=30 iui=0
_ds_load_b128 v[vgprValuB_X30_I0+0:vgprValuB_X30_I0+0+3], v[vgprLocalReadAddrB] offset:240 // L -> Reg lro=120 swapByteOffset=0 ti=4 vIdx=0 rIdx=0 oIdx=0 buffer=30 iui=0
_buffer_load_b128 v[vgprG2LA+56:vgprG2LA+56+3], v[vgprGlobalReadOffsetA+0], s[sgprSrdA:sgprSrdA+3], s[sgprScalarGlobalReadOffsetA+13], offen offset:0 // G -> Reg 0_0_14_0
s_waitcnt lgkmcnt(15)                              // lgkmcnt=0 vmcnt=-1wait for prior local read local write old=0, new=16 newLW=0 newLR=16
v_mfma_f32_4x4x4bf16_1k a[0+0:3+0], v[vgprValuA_X14_I0+0+0+0:vgprValuA_X14_I0+0+0+0+1], v[vgprValuB_X14_I0+0+0+0:vgprValuB_X14_I0+0+0+0+1], a[0:3]
/* numPrefetchIter=0 */
/* dataAtIterA=6 numReadsIterA=15 skipReadsIterA=8 readsPerIterA=1 */
/* dataAtIterB=6 numReadsIterB=15 skipReadsIterB=8 readsPerIterB=1 */


/* iter 15 */

/*  grEndMfmaIndex:16, lwStartMfmaIndex:25, lwEndMfmaIndex:25  */
/*  numMfmaForLR:0, barrierMfmaIndex:31 */
/*  mfmaIndex:15  */
/* localReadsVacancy: latencyLeft 1 */
_buffer_load_b128 v[vgprG2LA+60:vgprG2LA+60+3], v[vgprGlobalReadOffsetA+0], s[sgprSrdA:sgprSrdA+3], s[sgprScalarGlobalReadOffsetA+14], offen offset:0 // G -> Reg 0_0_15_0
s_waitcnt lgkmcnt(15)                              // lgkmcnt=0 vmcnt=-1wait for prior local read local write old=0, new=16 newLW=0 newLR=16
v_mfma_f32_4x4x4bf16_1k a[0+0:3+0], v[vgprValuA_X14_I0+0+2+0:vgprValuA_X14_I0+0+2+0+1], v[vgprValuB_X14_I0+0+2+0:vgprValuB_X14_I0+0+2+0+1], a[0:3]
/* numPrefetchIter=0 */
/* dataAtIterA=6 numReadsIterA=15 skipReadsIterA=8 readsPerIterA=1 */
/* dataAtIterB=6 numReadsIterB=15 skipReadsIterB=8 readsPerIterB=1 */


/* iter 16 */

/*  grEndMfmaIndex:16, lwStartMfmaIndex:25, lwEndMfmaIndex:25  */
/*  numMfmaForLR:0, barrierMfmaIndex:31 */
/*  mfmaIndex:16  */
/* localReadsVacancy: latencyLeft 1 */
_buffer_load_b64 v[vgprG2LB+0:vgprG2LB+0+1], v[vgprGlobalReadOffsetB+0], s[sgprSrdB:sgprSrdB+3], 0, offen offset:0 // G -> Reg 0_0_0_0
s_waitcnt lgkmcnt(14)                              // lgkmcnt=0 vmcnt=-1wait for prior local read local write old=0, new=14 newLW=0 newLR=14
v_mfma_f32_4x4x4bf16_1k a[0+0:3+0], v[vgprValuA_X16_I0+0+0+0:vgprValuA_X16_I0+0+0+0+1], v[vgprValuB_X16_I0+0+0+0:vgprValuB_X16_I0+0+0+0+1], a[0:3]
/* numPrefetchIter=0 */
/* dataAtIterA=7 numReadsIterA=15 skipReadsIterA=7 readsPerIterA=1 */
/* dataAtIterB=7 numReadsIterB=15 skipReadsIterB=7 readsPerIterB=1 */


/* iter 17 */

/*  grEndMfmaIndex:16, lwStartMfmaIndex:25, lwEndMfmaIndex:25  */
/*  numMfmaForLR:0, barrierMfmaIndex:31 */
/*  mfmaIndex:17  */
/* localReadsVacancy: latencyLeft 1 */

/* global read inc A loopL */
s_add_u32 s[sgprSrdA+0], s[sgprSrdA+0], s[sgprGlobalReadIncsA+0] // gra SRD += inc(lower)
s_waitcnt lgkmcnt(14)                              // lgkmcnt=0 vmcnt=-1wait for prior local read local write old=0, new=14 newLW=0 newLR=14
v_mfma_f32_4x4x4bf16_1k a[0+0:3+0], v[vgprValuA_X16_I0+0+2+0:vgprValuA_X16_I0+0+2+0+1], v[vgprValuB_X16_I0+0+2+0:vgprValuB_X16_I0+0+2+0+1], a[0:3]
/* numPrefetchIter=0 */
/* dataAtIterA=7 numReadsIterA=15 skipReadsIterA=7 readsPerIterA=1 */
/* dataAtIterB=7 numReadsIterB=15 skipReadsIterB=7 readsPerIterB=1 */


/* iter 18 */

/*  grEndMfmaIndex:16, lwStartMfmaIndex:25, lwEndMfmaIndex:25  */
/*  numMfmaForLR:0, barrierMfmaIndex:31 */
/*  mfmaIndex:18  */
/* localReadsVacancy: latencyLeft 1 */
s_addc_u32  s[sgprSrdA+1], s[sgprSrdA+1], 0        // gra SRD += inc(upper)
s_waitcnt lgkmcnt(12)                              // lgkmcnt=0 vmcnt=-1wait for prior local read local write old=0, new=12 newLW=0 newLR=12
v_mfma_f32_4x4x4bf16_1k a[0+0:3+0], v[vgprValuA_X18_I0+0+0+0:vgprValuA_X18_I0+0+0+0+1], v[vgprValuB_X18_I0+0+0+0:vgprValuB_X18_I0+0+0+0+1], a[0:3]
/* numPrefetchIter=0 */
/* dataAtIterA=8 numReadsIterA=15 skipReadsIterA=6 readsPerIterA=1 */
/* dataAtIterB=8 numReadsIterB=15 skipReadsIterB=6 readsPerIterB=1 */


/* iter 19 */

/*  grEndMfmaIndex:16, lwStartMfmaIndex:25, lwEndMfmaIndex:25  */
/*  numMfmaForLR:0, barrierMfmaIndex:31 */
/*  mfmaIndex:19  */
/* localReadsVacancy: latencyLeft 1 */
s_sub_u32 s[sgprShadowLimitA+0], s[sgprShadowLimitA+0], s[sgprGlobalReadIncsA+0] // limit -= inc)
s_waitcnt lgkmcnt(12)                              // lgkmcnt=0 vmcnt=-1wait for prior local read local write old=0, new=12 newLW=0 newLR=12
v_mfma_f32_4x4x4bf16_1k a[0+0:3+0], v[vgprValuA_X18_I0+0+2+0:vgprValuA_X18_I0+0+2+0+1], v[vgprValuB_X18_I0+0+2+0:vgprValuB_X18_I0+0+2+0+1], a[0:3]
/* numPrefetchIter=0 */
/* dataAtIterA=8 numReadsIterA=15 skipReadsIterA=6 readsPerIterA=1 */
/* dataAtIterB=8 numReadsIterB=15 skipReadsIterB=6 readsPerIterB=1 */


/* iter 20 */

/*  grEndMfmaIndex:16, lwStartMfmaIndex:25, lwEndMfmaIndex:25  */
/*  numMfmaForLR:0, barrierMfmaIndex:31 */
/*  mfmaIndex:20  */
/* localReadsVacancy: latencyLeft 1 */
s_subb_u32 s[sgprShadowLimitA+1], s[sgprShadowLimitA+1], 0 // limit -= inc)
s_waitcnt lgkmcnt(10)                              // lgkmcnt=0 vmcnt=-1wait for prior local read local write old=0, new=10 newLW=0 newLR=10
v_mfma_f32_4x4x4bf16_1k a[0+0:3+0], v[vgprValuA_X20_I0+0+0+0:vgprValuA_X20_I0+0+0+0+1], v[vgprValuB_X20_I0+0+0+0:vgprValuB_X20_I0+0+0+0+1], a[0:3]
/* numPrefetchIter=0 */
/* dataAtIterA=9 numReadsIterA=15 skipReadsIterA=5 readsPerIterA=1 */
/* dataAtIterB=9 numReadsIterB=15 skipReadsIterB=5 readsPerIterB=1 */


/* iter 21 */

/*  grEndMfmaIndex:16, lwStartMfmaIndex:25, lwEndMfmaIndex:25  */
/*  numMfmaForLR:0, barrierMfmaIndex:31 */
/*  mfmaIndex:21  */
/* localReadsVacancy: latencyLeft 1 */
s_cmp_eq_u32 s[sgprShadowLimitA+1], 0              // are we within 2^32?
s_waitcnt lgkmcnt(10)                              // lgkmcnt=0 vmcnt=-1wait for prior local read local write old=0, new=10 newLW=0 newLR=10
v_mfma_f32_4x4x4bf16_1k a[0+0:3+0], v[vgprValuA_X20_I0+0+2+0:vgprValuA_X20_I0+0+2+0+1], v[vgprValuB_X20_I0+0+2+0:vgprValuB_X20_I0+0+2+0+1], a[0:3]
/* numPrefetchIter=0 */
/* dataAtIterA=9 numReadsIterA=15 skipReadsIterA=5 readsPerIterA=1 */
/* dataAtIterB=9 numReadsIterB=15 skipReadsIterB=5 readsPerIterB=1 */


/* iter 22 */

/*  grEndMfmaIndex:16, lwStartMfmaIndex:25, lwEndMfmaIndex:25  */
/*  numMfmaForLR:0, barrierMfmaIndex:31 */
/*  mfmaIndex:22  */
/* localReadsVacancy: latencyLeft 1 */
s_cmov_b32 s[sgprSrdA+2], s[sgprShadowLimitA+0]    // Move shadow to real if we are within 2^32
s_waitcnt lgkmcnt(8)                               // lgkmcnt=0 vmcnt=-1wait for prior local read local write old=0, new=8 newLW=0 newLR=8
v_mfma_f32_4x4x4bf16_1k a[0+0:3+0], v[vgprValuA_X22_I0+0+0+0:vgprValuA_X22_I0+0+0+0+1], v[vgprValuB_X22_I0+0+0+0:vgprValuB_X22_I0+0+0+0+1], a[0:3]
/* numPrefetchIter=0 */
/* dataAtIterA=10 numReadsIterA=15 skipReadsIterA=4 readsPerIterA=1 */
/* dataAtIterB=10 numReadsIterB=15 skipReadsIterB=4 readsPerIterB=1 */


/* iter 23 */

/*  grEndMfmaIndex:16, lwStartMfmaIndex:25, lwEndMfmaIndex:25  */
/*  numMfmaForLR:0, barrierMfmaIndex:31 */
/*  mfmaIndex:23  */
/* localReadsVacancy: latencyLeft 1 */

/* global read inc B loopL */
s_add_u32 s[sgprSrdB+0], s[sgprSrdB+0], s[sgprGlobalReadIncsB+0] // gra SRD += inc(lower)
s_waitcnt lgkmcnt(8)                               // lgkmcnt=0 vmcnt=-1wait for prior local read local write old=0, new=8 newLW=0 newLR=8
v_mfma_f32_4x4x4bf16_1k a[0+0:3+0], v[vgprValuA_X22_I0+0+2+0:vgprValuA_X22_I0+0+2+0+1], v[vgprValuB_X22_I0+0+2+0:vgprValuB_X22_I0+0+2+0+1], a[0:3]
/* numPrefetchIter=0 */
/* dataAtIterA=10 numReadsIterA=15 skipReadsIterA=4 readsPerIterA=1 */
/* dataAtIterB=10 numReadsIterB=15 skipReadsIterB=4 readsPerIterB=1 */


/* iter 24 */

/*  grEndMfmaIndex:16, lwStartMfmaIndex:25, lwEndMfmaIndex:25  */
/*  numMfmaForLR:0, barrierMfmaIndex:31 */
/*  mfmaIndex:24  */
/* localReadsVacancy: latencyLeft 1 */
s_addc_u32  s[sgprSrdB+1], s[sgprSrdB+1], 0        // gra SRD += inc(upper)
/* 1 LDS buffer: read-sync-write */
s_waitcnt lgkmcnt(0)                               // 
s_barrier                                          // 
s_waitcnt lgkmcnt(6)                               // lgkmcnt=0 vmcnt=-1wait for prior local read local write old=0, new=6 newLW=0 newLR=6
v_mfma_f32_4x4x4bf16_1k a[0+0:3+0], v[vgprValuA_X24_I0+0+0+0:vgprValuA_X24_I0+0+0+0+1], v[vgprValuB_X24_I0+0+0+0:vgprValuB_X24_I0+0+0+0+1], a[0:3]
/* numPrefetchIter=0 */
/* dataAtIterA=11 numReadsIterA=15 skipReadsIterA=3 readsPerIterA=1 */
/* dataAtIterB=11 numReadsIterB=15 skipReadsIterB=3 readsPerIterB=1 */


/* iter 25 (swap and reset local write pointers iteration)  */

/*  grEndMfmaIndex:16, lwStartMfmaIndex:25, lwEndMfmaIndex:25  */
/*  numMfmaForLR:0, barrierMfmaIndex:31 */
/*  mfmaIndex:25  */
s_sub_u32 s[sgprShadowLimitB+0], s[sgprShadowLimitB+0], s[sgprGlobalReadIncsB+0] // limit -= inc)
/* sched write - iter 25 writesPerItem=1 */
s_waitcnt vmcnt(0)                                 // lgkmcnt=-1 vmcnt=0wait for global read before writing to local
_ds_store_b128 v[vgprLocalWriteAddrA], v[vgprG2LA+0:vgprG2LA+0+3] offset:0 // lwoA_0_0_0_0 = (0*LSCA)*(MT0I+PAD) + (0*LSPA) = 0
/* sched write - iter 25 writesPerItem=1 */
s_waitcnt vmcnt(0)                                 // lgkmcnt=-1 vmcnt=0wait for global read before writing to local
_ds_store_b128 v[vgprLocalWriteAddrA], v[vgprG2LA+4:vgprG2LA+4+3] offset:2176 // lwoA_0_0_1_0 = (0*LSCA)*(MT0I+PAD) + (1*LSPA) = 2176
/* sched write - iter 25 writesPerItem=1 */
s_waitcnt vmcnt(0)                                 // lgkmcnt=-1 vmcnt=0wait for global read before writing to local
_ds_store_b128 v[vgprLocalWriteAddrA], v[vgprG2LA+8:vgprG2LA+8+3] offset:4352 // lwoA_0_0_2_0 = (0*LSCA)*(MT0I+PAD) + (2*LSPA) = 4352
/* sched write - iter 25 writesPerItem=1 */
s_waitcnt vmcnt(0)                                 // lgkmcnt=-1 vmcnt=0wait for global read before writing to local
_ds_store_b128 v[vgprLocalWriteAddrA], v[vgprG2LA+12:vgprG2LA+12+3] offset:6528 // lwoA_0_0_3_0 = (0*LSCA)*(MT0I+PAD) + (3*LSPA) = 6528
/* sched write - iter 25 writesPerItem=1 */
s_waitcnt vmcnt(0)                                 // lgkmcnt=-1 vmcnt=0wait for global read before writing to local
_ds_store_b128 v[vgprLocalWriteAddrA], v[vgprG2LA+16:vgprG2LA+16+3] offset:8704 // lwoA_0_0_4_0 = (0*LSCA)*(MT0I+PAD) + (4*LSPA) = 8704
/* sched write - iter 25 writesPerItem=1 */
s_waitcnt vmcnt(0)                                 // lgkmcnt=-1 vmcnt=0wait for global read before writing to local
_ds_store_b128 v[vgprLocalWriteAddrA], v[vgprG2LA+20:vgprG2LA+20+3] offset:10880 // lwoA_0_0_5_0 = (0*LSCA)*(MT0I+PAD) + (5*LSPA) = 10880
/* sched write - iter 25 writesPerItem=1 */
s_waitcnt vmcnt(0)                                 // lgkmcnt=-1 vmcnt=0wait for global read before writing to local
_ds_store_b128 v[vgprLocalWriteAddrA], v[vgprG2LA+24:vgprG2LA+24+3] offset:13056 // lwoA_0_0_6_0 = (0*LSCA)*(MT0I+PAD) + (6*LSPA) = 13056
/* sched write - iter 25 writesPerItem=1 */
s_waitcnt vmcnt(0)                                 // lgkmcnt=-1 vmcnt=0wait for global read before writing to local
_ds_store_b128 v[vgprLocalWriteAddrA], v[vgprG2LA+28:vgprG2LA+28+3] offset:15232 // lwoA_0_0_7_0 = (0*LSCA)*(MT0I+PAD) + (7*LSPA) = 15232
/* sched write - iter 25 writesPerItem=1 */
s_waitcnt vmcnt(0)                                 // lgkmcnt=-1 vmcnt=0wait for global read before writing to local
_ds_store_b128 v[vgprLocalWriteAddrA], v[vgprG2LA+32:vgprG2LA+32+3] offset:17408 // lwoA_0_0_8_0 = (0*LSCA)*(MT0I+PAD) + (8*LSPA) = 17408
/* sched write - iter 25 writesPerItem=1 */
s_waitcnt vmcnt(0)                                 // lgkmcnt=-1 vmcnt=0wait for global read before writing to local
_ds_store_b128 v[vgprLocalWriteAddrA], v[vgprG2LA+36:vgprG2LA+36+3] offset:19584 // lwoA_0_0_9_0 = (0*LSCA)*(MT0I+PAD) + (9*LSPA) = 19584
/* sched write - iter 25 writesPerItem=1 */
s_waitcnt vmcnt(0)                                 // lgkmcnt=-1 vmcnt=0wait for global read before writing to local
_ds_store_b128 v[vgprLocalWriteAddrA], v[vgprG2LA+40:vgprG2LA+40+3] offset:21760 // lwoA_0_0_10_0 = (0*LSCA)*(MT0I+PAD) + (10*LSPA) = 21760
/* sched write - iter 25 writesPerItem=1 */
s_waitcnt vmcnt(0)                                 // lgkmcnt=-1 vmcnt=0wait for global read before writing to local
_ds_store_b128 v[vgprLocalWriteAddrA], v[vgprG2LA+44:vgprG2LA+44+3] offset:23936 // lwoA_0_0_11_0 = (0*LSCA)*(MT0I+PAD) + (11*LSPA) = 23936
/* sched write - iter 25 writesPerItem=1 */
s_waitcnt vmcnt(0)                                 // lgkmcnt=-1 vmcnt=0wait for global read before writing to local
_ds_store_b128 v[vgprLocalWriteAddrA], v[vgprG2LA+48:vgprG2LA+48+3] offset:26112 // lwoA_0_0_12_0 = (0*LSCA)*(MT0I+PAD) + (12*LSPA) = 26112
/* sched write - iter 25 writesPerItem=1 */
s_waitcnt vmcnt(0)                                 // lgkmcnt=-1 vmcnt=0wait for global read before writing to local
_ds_store_b128 v[vgprLocalWriteAddrA], v[vgprG2LA+52:vgprG2LA+52+3] offset:28288 // lwoA_0_0_13_0 = (0*LSCA)*(MT0I+PAD) + (13*LSPA) = 28288
/* sched write - iter 25 writesPerItem=1 */
s_waitcnt vmcnt(0)                                 // lgkmcnt=-1 vmcnt=0wait for global read before writing to local
_ds_store_b128 v[vgprLocalWriteAddrA], v[vgprG2LA+56:vgprG2LA+56+3] offset:30464 // lwoA_0_0_14_0 = (0*LSCA)*(MT0I+PAD) + (14*LSPA) = 30464
/* sched write - iter 25 writesPerItem=1 */
s_waitcnt vmcnt(0)                                 // lgkmcnt=-1 vmcnt=0wait for global read before writing to local
_ds_store_b128 v[vgprLocalWriteAddrA], v[vgprG2LA+60:vgprG2LA+60+3] offset:32640 // lwoA_0_0_15_0 = (0*LSCA)*(MT0I+PAD) + (15*LSPA) = 32640
/* sched write - iter 25 writesPerItem=1 */
s_waitcnt vmcnt(0)                                 // lgkmcnt=-1 vmcnt=0wait for global read before writing to local
_ds_store_b64 v[vgprLocalWriteAddrB], v[vgprG2LB+0:vgprG2LB+0+1] offset:0 // lwoB_0_0_0_0 = (0*LSCB)*(MT1J+PAD) + (0*LSPB) = 0

/* local write swap offsets a */

/* local write swap offsets b */
s_waitcnt lgkmcnt(15)                              // lgkmcnt=0 vmcnt=-1wait for prior local read local write old=0, new=23 newLW=17 newLR=6
v_mfma_f32_4x4x4bf16_1k a[0+0:3+0], v[vgprValuA_X24_I0+0+2+0:vgprValuA_X24_I0+0+2+0+1], v[vgprValuB_X24_I0+0+2+0:vgprValuB_X24_I0+0+2+0+1], a[0:3]
/* numPrefetchIter=0 */
/* dataAtIterA=11 numReadsIterA=15 skipReadsIterA=3 readsPerIterA=1 */
/* dataAtIterB=11 numReadsIterB=15 skipReadsIterB=3 readsPerIterB=1 */


/* iter 26 */

/*  grEndMfmaIndex:16, lwStartMfmaIndex:25, lwEndMfmaIndex:25  */
/*  numMfmaForLR:0, barrierMfmaIndex:31 */
/*  mfmaIndex:26  */
s_subb_u32 s[sgprShadowLimitB+1], s[sgprShadowLimitB+1], 0 // limit -= inc)
v_mfma_f32_4x4x4bf16_1k a[0+0:3+0], v[vgprValuA_X26_I0+0+0+0:vgprValuA_X26_I0+0+0+0+1], v[vgprValuB_X26_I0+0+0+0:vgprValuB_X26_I0+0+0+0+1], a[0:3]


/* iter 27 */

/*  grEndMfmaIndex:16, lwStartMfmaIndex:25, lwEndMfmaIndex:25  */
/*  numMfmaForLR:0, barrierMfmaIndex:31 */
/*  mfmaIndex:27  */
s_cmp_eq_u32 s[sgprShadowLimitB+1], 0              // are we within 2^32?
v_mfma_f32_4x4x4bf16_1k a[0+0:3+0], v[vgprValuA_X26_I0+0+2+0:vgprValuA_X26_I0+0+2+0+1], v[vgprValuB_X26_I0+0+2+0:vgprValuB_X26_I0+0+2+0+1], a[0:3]


/* iter 28 */

/*  grEndMfmaIndex:16, lwStartMfmaIndex:25, lwEndMfmaIndex:25  */
/*  numMfmaForLR:0, barrierMfmaIndex:31 */
/*  mfmaIndex:28  */
s_cmov_b32 s[sgprSrdB+2], s[sgprShadowLimitB+0]    // Move shadow to real if we are within 2^32
v_mfma_f32_4x4x4bf16_1k a[0+0:3+0], v[vgprValuA_X28_I0+0+0+0:vgprValuA_X28_I0+0+0+0+1], v[vgprValuB_X28_I0+0+0+0:vgprValuB_X28_I0+0+0+0+1], a[0:3]


/* iter 29 */

/*  grEndMfmaIndex:16, lwStartMfmaIndex:25, lwEndMfmaIndex:25  */
/*  numMfmaForLR:0, barrierMfmaIndex:31 */
/*  mfmaIndex:29  */
v_mfma_f32_4x4x4bf16_1k a[0+0:3+0], v[vgprValuA_X28_I0+0+2+0:vgprValuA_X28_I0+0+2+0+1], v[vgprValuB_X28_I0+0+2+0:vgprValuB_X28_I0+0+2+0+1], a[0:3]


/* iter 30 (reset local read pointers iteration)  (swap local read pointers iteration)  */

/*  grEndMfmaIndex:16, lwStartMfmaIndex:25, lwEndMfmaIndex:25  */
/*  numMfmaForLR:0, barrierMfmaIndex:31 */
/*  mfmaIndex:30  */

/* local read swap offsets a */

/* local read swap offsets b */

/* local read init pointers a */

/* localReadInitPointers */

/* local read init pointers b */

/* localReadInitPointers */
v_mfma_f32_4x4x4bf16_1k a[0+0:3+0], v[vgprValuA_X30_I0+0+0+0:vgprValuA_X30_I0+0+0+0+1], v[vgprValuB_X30_I0+0+0+0:vgprValuB_X30_I0+0+0+0+1], a[0:3]


/* iter 31 */

/*  grEndMfmaIndex:16, lwStartMfmaIndex:25, lwEndMfmaIndex:25  */
/*  numMfmaForLR:0, barrierMfmaIndex:31 */
/*  mfmaIndex:31  */
s_waitcnt lgkmcnt(0)                               // lgkmcnt=0 vmcnt=-13wait for local write
s_waitcnt lgkmcnt(0) & vmcnt(0)                    // force waitcnt0
s_barrier //
_ds_load_b128 v[vgprValuA_X0_I0+0:vgprValuA_X0_I0+0+3], v[vgprLocalReadAddrA] offset:0 // L -> Reg lro=0 swapByteOffset=0 ti=128 vIdx=0 rIdx=0 oIdx=0 buffer=0 iui=0
_ds_load_b128 v[vgprValuB_X0_I0+0:vgprValuB_X0_I0+0+3], v[vgprLocalReadAddrB] offset:0 // L -> Reg lro=0 swapByteOffset=0 ti=4 vIdx=0 rIdx=0 oIdx=0 buffer=0 iui=0
v_mfma_f32_4x4x4bf16_1k a[0+0:3+0], v[vgprValuA_X30_I0+0+2+0:vgprValuA_X30_I0+0+2+0+1], v[vgprValuB_X30_I0+0+2+0:vgprValuB_X30_I0+0+2+0+1], a[0:3]


/******************************************/
/* Unrolled Loop - End 2/2 (final)        */
/******************************************/


/* closeLoop loopL finalLoop=1 tailLoop=0 */
s_sub_u32 s[sgprLoopCounterL], s[sgprLoopCounterL], 1 // dec counterL
s_cmp_eq_i32 s[sgprLoopCounterL], 0x1              // counterL==1
s_cbranch_scc0 LoopBeginL_1                        // restart LoopL
LoopEndL_evenexit_4: // unroll loop eveniter exit
s_branch LoopEndL_2                                // exit unroll loopL (and skip second exit code)
LoopEndL_oddexit_3: // unroll loop odditer exit

/* Select high bank of LDS */
LoopEndL_2:


/* Before NLL: Check VGPR.checkin for INT8 LW */


/******************************************/
/* Opt. NoLoadLoop Without PAP - Begin                                      */
/******************************************/

s_cmpk_eq_u32 s[sgprBeta], 0x0                     // Beta == 0
s_cbranch_scc0 OptNLL_End_15                       // Branch if Beta is not zero

s_cmp_eq_u32 s[sgprAlpha], 1.0                     // Alpha == 1.0 ?
s_cbranch_scc0 OptNLL_End_15                       // branch if alpha != 1

s_and_b32 s32, 127, s[sgprSizeI]                   // s32 = s[sgprSizeI] % 128
s_add_u32 s33, -0x1, s[sgprNumWorkGroups0]         // 
s_cmp_ge_u32 s[sgprWorkGroup0], s33                // wg0 >= nwg0-1 ?
s_cselect_b32 s32, s32, 0                          // set rMT0
s_cmpk_gt_u32 s32, 0x0                             // rMT0 > 0
s_cbranch_scc1 OptNLL_End_15                       // jump if edges required
s_and_b32 s32, 3, s[sgprSizeJ]                     // s32 = s[sgprSizeJ] % 4
s_add_u32 s33, -0x1, s[sgprNumWorkGroups1]         // 
s_cmp_ge_u32 s[sgprWorkGroup1], s33                // wg1 >= nwg1-1
s_cselect_b32 s32, s32, 0                          // set rMT1
s_cmpk_gt_u32 s32, 0x0                             // rMT1 > 0
s_cbranch_scc1 OptNLL_End_15                       // jump if edges required

s_and_b32 s33, 127, s[sgprSizesSum+0]              // s33 = s[sgprSizesSum+0] % 128
s_cmp_eq_u32 s33, 0x0                              // numIterL == 0
s_cbranch_scc0 OptNLL_End_15                       // skip if tail loop required


	;; [unrolled: 1-line block ×3, first 2 shown]
/* iter 0 (last unrolled loop) */

/*  grEndMfmaIndex:0, lwStartMfmaIndex:25, lwEndMfmaIndex:25  */
/*  numMfmaForLR:0, barrierMfmaIndex:31 */
/*  mfmaIndex:0  */
_ds_load_b128 v[vgprValuA_X2_I0+0:vgprValuA_X2_I0+0+3], v[vgprLocalReadAddrA] offset:16 // L -> Reg lro=8 swapByteOffset=0 ti=128 vIdx=0 rIdx=0 oIdx=0 buffer=2 iui=0
_ds_load_b128 v[vgprValuB_X2_I0+0:vgprValuB_X2_I0+0+3], v[vgprLocalReadAddrB] offset:16 // L -> Reg lro=8 swapByteOffset=0 ti=4 vIdx=0 rIdx=0 oIdx=0 buffer=2 iui=0
s_waitcnt lgkmcnt(2)                               // lgkmcnt=0 vmcnt=-1wait for prior local read local write old=0, new=2 newLW=0 newLR=2
v_mfma_f32_4x4x4bf16_1k a[0+0:3+0], v[vgprValuA_X0_I0+0+0+0:vgprValuA_X0_I0+0+0+0+1], v[vgprValuB_X0_I0+0+0+0:vgprValuB_X0_I0+0+0+0+1], a[0:3]
/* numPrefetchIter=0 */
/* dataAtIterA=-1 numReadsIterA=1 skipReadsIterA=1 readsPerIterA=1 */
/* dataAtIterB=-1 numReadsIterB=1 skipReadsIterB=1 readsPerIterB=1 */


/* iter 1 (last unrolled loop) */

/*  grEndMfmaIndex:0, lwStartMfmaIndex:25, lwEndMfmaIndex:25  */
/*  numMfmaForLR:0, barrierMfmaIndex:31 */
/*  mfmaIndex:1  */
_ds_load_b128 v[vgprValuA_X4_I0+0:vgprValuA_X4_I0+0+3], v[vgprLocalReadAddrA] offset:32 // L -> Reg lro=16 swapByteOffset=0 ti=128 vIdx=0 rIdx=0 oIdx=0 buffer=4 iui=0
_ds_load_b128 v[vgprValuB_X4_I0+0:vgprValuB_X4_I0+0+3], v[vgprLocalReadAddrB] offset:32 // L -> Reg lro=16 swapByteOffset=0 ti=4 vIdx=0 rIdx=0 oIdx=0 buffer=4 iui=0
s_waitcnt lgkmcnt(4)                               // lgkmcnt=0 vmcnt=-1wait for prior local read local write old=0, new=4 newLW=0 newLR=4
v_mfma_f32_4x4x4bf16_1k a[0+0:3+0], v[vgprValuA_X0_I0+0+2+0:vgprValuA_X0_I0+0+2+0+1], v[vgprValuB_X0_I0+0+2+0:vgprValuB_X0_I0+0+2+0+1], a[0:3]
/* numPrefetchIter=0 */
/* dataAtIterA=-1 numReadsIterA=2 skipReadsIterA=2 readsPerIterA=1 */
/* dataAtIterB=-1 numReadsIterB=2 skipReadsIterB=2 readsPerIterB=1 */


/* iter 2 (last unrolled loop) */

/*  grEndMfmaIndex:0, lwStartMfmaIndex:25, lwEndMfmaIndex:25  */
/*  numMfmaForLR:0, barrierMfmaIndex:31 */
/*  mfmaIndex:2  */
_ds_load_b128 v[vgprValuA_X6_I0+0:vgprValuA_X6_I0+0+3], v[vgprLocalReadAddrA] offset:48 // L -> Reg lro=24 swapByteOffset=0 ti=128 vIdx=0 rIdx=0 oIdx=0 buffer=6 iui=0
_ds_load_b128 v[vgprValuB_X6_I0+0:vgprValuB_X6_I0+0+3], v[vgprLocalReadAddrB] offset:48 // L -> Reg lro=24 swapByteOffset=0 ti=4 vIdx=0 rIdx=0 oIdx=0 buffer=6 iui=0
s_waitcnt lgkmcnt(4)                               // lgkmcnt=0 vmcnt=-1wait for prior local read local write old=0, new=4 newLW=0 newLR=4
v_mfma_f32_4x4x4bf16_1k a[0+0:3+0], v[vgprValuA_X2_I0+0+0+0:vgprValuA_X2_I0+0+0+0+1], v[vgprValuB_X2_I0+0+0+0:vgprValuB_X2_I0+0+0+0+1], a[0:3]
/* numPrefetchIter=0 */
/* dataAtIterA=0 numReadsIterA=3 skipReadsIterA=2 readsPerIterA=1 */
/* dataAtIterB=0 numReadsIterB=3 skipReadsIterB=2 readsPerIterB=1 */


/* iter 3 (last unrolled loop) */

/*  grEndMfmaIndex:0, lwStartMfmaIndex:25, lwEndMfmaIndex:25  */
/*  numMfmaForLR:0, barrierMfmaIndex:31 */
/*  mfmaIndex:3  */
_ds_load_b128 v[vgprValuA_X8_I0+0:vgprValuA_X8_I0+0+3], v[vgprLocalReadAddrA] offset:64 // L -> Reg lro=32 swapByteOffset=0 ti=128 vIdx=0 rIdx=0 oIdx=0 buffer=8 iui=0
_ds_load_b128 v[vgprValuB_X8_I0+0:vgprValuB_X8_I0+0+3], v[vgprLocalReadAddrB] offset:64 // L -> Reg lro=32 swapByteOffset=0 ti=4 vIdx=0 rIdx=0 oIdx=0 buffer=8 iui=0
s_waitcnt lgkmcnt(6)                               // lgkmcnt=0 vmcnt=-1wait for prior local read local write old=0, new=6 newLW=0 newLR=6
v_mfma_f32_4x4x4bf16_1k a[0+0:3+0], v[vgprValuA_X2_I0+0+2+0:vgprValuA_X2_I0+0+2+0+1], v[vgprValuB_X2_I0+0+2+0:vgprValuB_X2_I0+0+2+0+1], a[0:3]
/* numPrefetchIter=0 */
/* dataAtIterA=0 numReadsIterA=4 skipReadsIterA=3 readsPerIterA=1 */
/* dataAtIterB=0 numReadsIterB=4 skipReadsIterB=3 readsPerIterB=1 */


/* iter 4 (last unrolled loop) */

/*  grEndMfmaIndex:0, lwStartMfmaIndex:25, lwEndMfmaIndex:25  */
/*  numMfmaForLR:0, barrierMfmaIndex:31 */
/*  mfmaIndex:4  */
_ds_load_b128 v[vgprValuA_X10_I0+0:vgprValuA_X10_I0+0+3], v[vgprLocalReadAddrA] offset:80 // L -> Reg lro=40 swapByteOffset=0 ti=128 vIdx=0 rIdx=0 oIdx=0 buffer=10 iui=0
_ds_load_b128 v[vgprValuB_X10_I0+0:vgprValuB_X10_I0+0+3], v[vgprLocalReadAddrB] offset:80 // L -> Reg lro=40 swapByteOffset=0 ti=4 vIdx=0 rIdx=0 oIdx=0 buffer=10 iui=0
s_waitcnt lgkmcnt(6)                               // lgkmcnt=0 vmcnt=-1wait for prior local read local write old=0, new=6 newLW=0 newLR=6
v_mfma_f32_4x4x4bf16_1k a[0+0:3+0], v[vgprValuA_X4_I0+0+0+0:vgprValuA_X4_I0+0+0+0+1], v[vgprValuB_X4_I0+0+0+0:vgprValuB_X4_I0+0+0+0+1], a[0:3]
/* numPrefetchIter=0 */
/* dataAtIterA=1 numReadsIterA=5 skipReadsIterA=3 readsPerIterA=1 */
/* dataAtIterB=1 numReadsIterB=5 skipReadsIterB=3 readsPerIterB=1 */


/* iter 5 (last unrolled loop) */

/*  grEndMfmaIndex:0, lwStartMfmaIndex:25, lwEndMfmaIndex:25  */
/*  numMfmaForLR:0, barrierMfmaIndex:31 */
/*  mfmaIndex:5  */
_ds_load_b128 v[vgprValuA_X12_I0+0:vgprValuA_X12_I0+0+3], v[vgprLocalReadAddrA] offset:96 // L -> Reg lro=48 swapByteOffset=0 ti=128 vIdx=0 rIdx=0 oIdx=0 buffer=12 iui=0
_ds_load_b128 v[vgprValuB_X12_I0+0:vgprValuB_X12_I0+0+3], v[vgprLocalReadAddrB] offset:96 // L -> Reg lro=48 swapByteOffset=0 ti=4 vIdx=0 rIdx=0 oIdx=0 buffer=12 iui=0
s_waitcnt lgkmcnt(8)                               // lgkmcnt=0 vmcnt=-1wait for prior local read local write old=0, new=8 newLW=0 newLR=8
v_mfma_f32_4x4x4bf16_1k a[0+0:3+0], v[vgprValuA_X4_I0+0+2+0:vgprValuA_X4_I0+0+2+0+1], v[vgprValuB_X4_I0+0+2+0:vgprValuB_X4_I0+0+2+0+1], a[0:3]
/* numPrefetchIter=0 */
/* dataAtIterA=1 numReadsIterA=6 skipReadsIterA=4 readsPerIterA=1 */
/* dataAtIterB=1 numReadsIterB=6 skipReadsIterB=4 readsPerIterB=1 */


/* iter 6 (last unrolled loop) */

/*  grEndMfmaIndex:0, lwStartMfmaIndex:25, lwEndMfmaIndex:25  */
/*  numMfmaForLR:0, barrierMfmaIndex:31 */
/*  mfmaIndex:6  */
_ds_load_b128 v[vgprValuA_X14_I0+0:vgprValuA_X14_I0+0+3], v[vgprLocalReadAddrA] offset:112 // L -> Reg lro=56 swapByteOffset=0 ti=128 vIdx=0 rIdx=0 oIdx=0 buffer=14 iui=0
_ds_load_b128 v[vgprValuB_X14_I0+0:vgprValuB_X14_I0+0+3], v[vgprLocalReadAddrB] offset:112 // L -> Reg lro=56 swapByteOffset=0 ti=4 vIdx=0 rIdx=0 oIdx=0 buffer=14 iui=0
s_waitcnt lgkmcnt(8)                               // lgkmcnt=0 vmcnt=-1wait for prior local read local write old=0, new=8 newLW=0 newLR=8
v_mfma_f32_4x4x4bf16_1k a[0+0:3+0], v[vgprValuA_X6_I0+0+0+0:vgprValuA_X6_I0+0+0+0+1], v[vgprValuB_X6_I0+0+0+0:vgprValuB_X6_I0+0+0+0+1], a[0:3]
/* numPrefetchIter=0 */
/* dataAtIterA=2 numReadsIterA=7 skipReadsIterA=4 readsPerIterA=1 */
/* dataAtIterB=2 numReadsIterB=7 skipReadsIterB=4 readsPerIterB=1 */


/* iter 7 (last unrolled loop) */

/*  grEndMfmaIndex:0, lwStartMfmaIndex:25, lwEndMfmaIndex:25  */
/*  numMfmaForLR:0, barrierMfmaIndex:31 */
/*  mfmaIndex:7  */
_ds_load_b128 v[vgprValuA_X16_I0+0:vgprValuA_X16_I0+0+3], v[vgprLocalReadAddrA] offset:128 // L -> Reg lro=64 swapByteOffset=0 ti=128 vIdx=0 rIdx=0 oIdx=0 buffer=16 iui=0
_ds_load_b128 v[vgprValuB_X16_I0+0:vgprValuB_X16_I0+0+3], v[vgprLocalReadAddrB] offset:128 // L -> Reg lro=64 swapByteOffset=0 ti=4 vIdx=0 rIdx=0 oIdx=0 buffer=16 iui=0
s_waitcnt lgkmcnt(10)                              // lgkmcnt=0 vmcnt=-1wait for prior local read local write old=0, new=10 newLW=0 newLR=10
v_mfma_f32_4x4x4bf16_1k a[0+0:3+0], v[vgprValuA_X6_I0+0+2+0:vgprValuA_X6_I0+0+2+0+1], v[vgprValuB_X6_I0+0+2+0:vgprValuB_X6_I0+0+2+0+1], a[0:3]
/* numPrefetchIter=0 */
/* dataAtIterA=2 numReadsIterA=8 skipReadsIterA=5 readsPerIterA=1 */
/* dataAtIterB=2 numReadsIterB=8 skipReadsIterB=5 readsPerIterB=1 */


/* iter 8 (last unrolled loop) */

/*  grEndMfmaIndex:0, lwStartMfmaIndex:25, lwEndMfmaIndex:25  */
/*  numMfmaForLR:0, barrierMfmaIndex:31 */
/*  mfmaIndex:8  */
_ds_load_b128 v[vgprValuA_X18_I0+0:vgprValuA_X18_I0+0+3], v[vgprLocalReadAddrA] offset:144 // L -> Reg lro=72 swapByteOffset=0 ti=128 vIdx=0 rIdx=0 oIdx=0 buffer=18 iui=0
_ds_load_b128 v[vgprValuB_X18_I0+0:vgprValuB_X18_I0+0+3], v[vgprLocalReadAddrB] offset:144 // L -> Reg lro=72 swapByteOffset=0 ti=4 vIdx=0 rIdx=0 oIdx=0 buffer=18 iui=0
s_waitcnt lgkmcnt(10)                              // lgkmcnt=0 vmcnt=-1wait for prior local read local write old=0, new=10 newLW=0 newLR=10
v_mfma_f32_4x4x4bf16_1k a[0+0:3+0], v[vgprValuA_X8_I0+0+0+0:vgprValuA_X8_I0+0+0+0+1], v[vgprValuB_X8_I0+0+0+0:vgprValuB_X8_I0+0+0+0+1], a[0:3]
/* numPrefetchIter=0 */
/* dataAtIterA=3 numReadsIterA=9 skipReadsIterA=5 readsPerIterA=1 */
/* dataAtIterB=3 numReadsIterB=9 skipReadsIterB=5 readsPerIterB=1 */


/* iter 9 (last unrolled loop) */

/*  grEndMfmaIndex:0, lwStartMfmaIndex:25, lwEndMfmaIndex:25  */
/*  numMfmaForLR:0, barrierMfmaIndex:31 */
/*  mfmaIndex:9  */
_ds_load_b128 v[vgprValuA_X20_I0+0:vgprValuA_X20_I0+0+3], v[vgprLocalReadAddrA] offset:160 // L -> Reg lro=80 swapByteOffset=0 ti=128 vIdx=0 rIdx=0 oIdx=0 buffer=20 iui=0
_ds_load_b128 v[vgprValuB_X20_I0+0:vgprValuB_X20_I0+0+3], v[vgprLocalReadAddrB] offset:160 // L -> Reg lro=80 swapByteOffset=0 ti=4 vIdx=0 rIdx=0 oIdx=0 buffer=20 iui=0
s_waitcnt lgkmcnt(12)                              // lgkmcnt=0 vmcnt=-1wait for prior local read local write old=0, new=12 newLW=0 newLR=12
v_mfma_f32_4x4x4bf16_1k a[0+0:3+0], v[vgprValuA_X8_I0+0+2+0:vgprValuA_X8_I0+0+2+0+1], v[vgprValuB_X8_I0+0+2+0:vgprValuB_X8_I0+0+2+0+1], a[0:3]
/* numPrefetchIter=0 */
/* dataAtIterA=3 numReadsIterA=10 skipReadsIterA=6 readsPerIterA=1 */
/* dataAtIterB=3 numReadsIterB=10 skipReadsIterB=6 readsPerIterB=1 */


/* iter 10 (last unrolled loop) */

/*  grEndMfmaIndex:0, lwStartMfmaIndex:25, lwEndMfmaIndex:25  */
/*  numMfmaForLR:0, barrierMfmaIndex:31 */
/*  mfmaIndex:10  */
_ds_load_b128 v[vgprValuA_X22_I0+0:vgprValuA_X22_I0+0+3], v[vgprLocalReadAddrA] offset:176 // L -> Reg lro=88 swapByteOffset=0 ti=128 vIdx=0 rIdx=0 oIdx=0 buffer=22 iui=0
_ds_load_b128 v[vgprValuB_X22_I0+0:vgprValuB_X22_I0+0+3], v[vgprLocalReadAddrB] offset:176 // L -> Reg lro=88 swapByteOffset=0 ti=4 vIdx=0 rIdx=0 oIdx=0 buffer=22 iui=0
s_waitcnt lgkmcnt(12)                              // lgkmcnt=0 vmcnt=-1wait for prior local read local write old=0, new=12 newLW=0 newLR=12
v_mfma_f32_4x4x4bf16_1k a[0+0:3+0], v[vgprValuA_X10_I0+0+0+0:vgprValuA_X10_I0+0+0+0+1], v[vgprValuB_X10_I0+0+0+0:vgprValuB_X10_I0+0+0+0+1], a[0:3]
/* numPrefetchIter=0 */
/* dataAtIterA=4 numReadsIterA=11 skipReadsIterA=6 readsPerIterA=1 */
/* dataAtIterB=4 numReadsIterB=11 skipReadsIterB=6 readsPerIterB=1 */


/* iter 11 (last unrolled loop) */

/*  grEndMfmaIndex:0, lwStartMfmaIndex:25, lwEndMfmaIndex:25  */
/*  numMfmaForLR:0, barrierMfmaIndex:31 */
/*  mfmaIndex:11  */
_ds_load_b128 v[vgprValuA_X24_I0+0:vgprValuA_X24_I0+0+3], v[vgprLocalReadAddrA] offset:192 // L -> Reg lro=96 swapByteOffset=0 ti=128 vIdx=0 rIdx=0 oIdx=0 buffer=24 iui=0
_ds_load_b128 v[vgprValuB_X24_I0+0:vgprValuB_X24_I0+0+3], v[vgprLocalReadAddrB] offset:192 // L -> Reg lro=96 swapByteOffset=0 ti=4 vIdx=0 rIdx=0 oIdx=0 buffer=24 iui=0
s_waitcnt lgkmcnt(14)                              // lgkmcnt=0 vmcnt=-1wait for prior local read local write old=0, new=14 newLW=0 newLR=14
v_mfma_f32_4x4x4bf16_1k a[0+0:3+0], v[vgprValuA_X10_I0+0+2+0:vgprValuA_X10_I0+0+2+0+1], v[vgprValuB_X10_I0+0+2+0:vgprValuB_X10_I0+0+2+0+1], a[0:3]
/* numPrefetchIter=0 */
/* dataAtIterA=4 numReadsIterA=12 skipReadsIterA=7 readsPerIterA=1 */
/* dataAtIterB=4 numReadsIterB=12 skipReadsIterB=7 readsPerIterB=1 */


/* iter 12 (last unrolled loop) */

/*  grEndMfmaIndex:0, lwStartMfmaIndex:25, lwEndMfmaIndex:25  */
/*  numMfmaForLR:0, barrierMfmaIndex:31 */
/*  mfmaIndex:12  */
_ds_load_b128 v[vgprValuA_X26_I0+0:vgprValuA_X26_I0+0+3], v[vgprLocalReadAddrA] offset:208 // L -> Reg lro=104 swapByteOffset=0 ti=128 vIdx=0 rIdx=0 oIdx=0 buffer=26 iui=0
_ds_load_b128 v[vgprValuB_X26_I0+0:vgprValuB_X26_I0+0+3], v[vgprLocalReadAddrB] offset:208 // L -> Reg lro=104 swapByteOffset=0 ti=4 vIdx=0 rIdx=0 oIdx=0 buffer=26 iui=0
s_waitcnt lgkmcnt(14)                              // lgkmcnt=0 vmcnt=-1wait for prior local read local write old=0, new=14 newLW=0 newLR=14
v_mfma_f32_4x4x4bf16_1k a[0+0:3+0], v[vgprValuA_X12_I0+0+0+0:vgprValuA_X12_I0+0+0+0+1], v[vgprValuB_X12_I0+0+0+0:vgprValuB_X12_I0+0+0+0+1], a[0:3]
/* numPrefetchIter=0 */
/* dataAtIterA=5 numReadsIterA=13 skipReadsIterA=7 readsPerIterA=1 */
/* dataAtIterB=5 numReadsIterB=13 skipReadsIterB=7 readsPerIterB=1 */


/* iter 13 (last unrolled loop) */

/*  grEndMfmaIndex:0, lwStartMfmaIndex:25, lwEndMfmaIndex:25  */
/*  numMfmaForLR:0, barrierMfmaIndex:31 */
/*  mfmaIndex:13  */
_ds_load_b128 v[vgprValuA_X28_I0+0:vgprValuA_X28_I0+0+3], v[vgprLocalReadAddrA] offset:224 // L -> Reg lro=112 swapByteOffset=0 ti=128 vIdx=0 rIdx=0 oIdx=0 buffer=28 iui=0
_ds_load_b128 v[vgprValuB_X28_I0+0:vgprValuB_X28_I0+0+3], v[vgprLocalReadAddrB] offset:224 // L -> Reg lro=112 swapByteOffset=0 ti=4 vIdx=0 rIdx=0 oIdx=0 buffer=28 iui=0
s_waitcnt lgkmcnt(15)                              // lgkmcnt=0 vmcnt=-1wait for prior local read local write old=0, new=16 newLW=0 newLR=16
v_mfma_f32_4x4x4bf16_1k a[0+0:3+0], v[vgprValuA_X12_I0+0+2+0:vgprValuA_X12_I0+0+2+0+1], v[vgprValuB_X12_I0+0+2+0:vgprValuB_X12_I0+0+2+0+1], a[0:3]
/* numPrefetchIter=0 */
/* dataAtIterA=5 numReadsIterA=14 skipReadsIterA=8 readsPerIterA=1 */
/* dataAtIterB=5 numReadsIterB=14 skipReadsIterB=8 readsPerIterB=1 */


/* iter 14 (last unrolled loop) */

/*  grEndMfmaIndex:0, lwStartMfmaIndex:25, lwEndMfmaIndex:25  */
/*  numMfmaForLR:0, barrierMfmaIndex:31 */
/*  mfmaIndex:14  */
_ds_load_b128 v[vgprValuA_X30_I0+0:vgprValuA_X30_I0+0+3], v[vgprLocalReadAddrA] offset:240 // L -> Reg lro=120 swapByteOffset=0 ti=128 vIdx=0 rIdx=0 oIdx=0 buffer=30 iui=0
_ds_load_b128 v[vgprValuB_X30_I0+0:vgprValuB_X30_I0+0+3], v[vgprLocalReadAddrB] offset:240 // L -> Reg lro=120 swapByteOffset=0 ti=4 vIdx=0 rIdx=0 oIdx=0 buffer=30 iui=0
s_waitcnt lgkmcnt(15)                              // lgkmcnt=0 vmcnt=-1wait for prior local read local write old=0, new=16 newLW=0 newLR=16
v_mfma_f32_4x4x4bf16_1k a[0+0:3+0], v[vgprValuA_X14_I0+0+0+0:vgprValuA_X14_I0+0+0+0+1], v[vgprValuB_X14_I0+0+0+0:vgprValuB_X14_I0+0+0+0+1], a[0:3]
/* numPrefetchIter=0 */
/* dataAtIterA=6 numReadsIterA=15 skipReadsIterA=8 readsPerIterA=1 */
/* dataAtIterB=6 numReadsIterB=15 skipReadsIterB=8 readsPerIterB=1 */


/* iter 15 (last unrolled loop) */

/*  grEndMfmaIndex:0, lwStartMfmaIndex:25, lwEndMfmaIndex:25  */
/*  numMfmaForLR:0, barrierMfmaIndex:31 */
/*  mfmaIndex:15  */
/* localReadsVacancy: latencyLeft 1 */
s_waitcnt lgkmcnt(15)                              // lgkmcnt=0 vmcnt=-1wait for prior local read local write old=0, new=16 newLW=0 newLR=16
v_mfma_f32_4x4x4bf16_1k a[0+0:3+0], v[vgprValuA_X14_I0+0+2+0:vgprValuA_X14_I0+0+2+0+1], v[vgprValuB_X14_I0+0+2+0:vgprValuB_X14_I0+0+2+0+1], a[0:3]
/* numPrefetchIter=0 */
/* dataAtIterA=6 numReadsIterA=15 skipReadsIterA=8 readsPerIterA=1 */
/* dataAtIterB=6 numReadsIterB=15 skipReadsIterB=8 readsPerIterB=1 */


/* iter 16 (last unrolled loop) */

/*  grEndMfmaIndex:0, lwStartMfmaIndex:25, lwEndMfmaIndex:25  */
/*  numMfmaForLR:0, barrierMfmaIndex:31 */
/*  mfmaIndex:16  */
/* localReadsVacancy: latencyLeft 1 */
s_waitcnt lgkmcnt(14)                              // lgkmcnt=0 vmcnt=-1wait for prior local read local write old=0, new=14 newLW=0 newLR=14
v_mfma_f32_4x4x4bf16_1k a[0+0:3+0], v[vgprValuA_X16_I0+0+0+0:vgprValuA_X16_I0+0+0+0+1], v[vgprValuB_X16_I0+0+0+0:vgprValuB_X16_I0+0+0+0+1], a[0:3]
/* numPrefetchIter=0 */
/* dataAtIterA=7 numReadsIterA=15 skipReadsIterA=7 readsPerIterA=1 */
/* dataAtIterB=7 numReadsIterB=15 skipReadsIterB=7 readsPerIterB=1 */


/* iter 17 (last unrolled loop) */

/*  grEndMfmaIndex:0, lwStartMfmaIndex:25, lwEndMfmaIndex:25  */
/*  numMfmaForLR:0, barrierMfmaIndex:31 */
/*  mfmaIndex:17  */
/* localReadsVacancy: latencyLeft 1 */
s_waitcnt lgkmcnt(14)                              // lgkmcnt=0 vmcnt=-1wait for prior local read local write old=0, new=14 newLW=0 newLR=14
v_mfma_f32_4x4x4bf16_1k a[0+0:3+0], v[vgprValuA_X16_I0+0+2+0:vgprValuA_X16_I0+0+2+0+1], v[vgprValuB_X16_I0+0+2+0:vgprValuB_X16_I0+0+2+0+1], a[0:3]
/* numPrefetchIter=0 */
/* dataAtIterA=7 numReadsIterA=15 skipReadsIterA=7 readsPerIterA=1 */
/* dataAtIterB=7 numReadsIterB=15 skipReadsIterB=7 readsPerIterB=1 */


/* iter 18 (last unrolled loop) */

/*  grEndMfmaIndex:0, lwStartMfmaIndex:25, lwEndMfmaIndex:25  */
/*  numMfmaForLR:0, barrierMfmaIndex:31 */
/*  mfmaIndex:18  */
/* localReadsVacancy: latencyLeft 1 */
s_waitcnt lgkmcnt(12)                              // lgkmcnt=0 vmcnt=-1wait for prior local read local write old=0, new=12 newLW=0 newLR=12
v_mfma_f32_4x4x4bf16_1k a[0+0:3+0], v[vgprValuA_X18_I0+0+0+0:vgprValuA_X18_I0+0+0+0+1], v[vgprValuB_X18_I0+0+0+0:vgprValuB_X18_I0+0+0+0+1], a[0:3]
/* numPrefetchIter=0 */
/* dataAtIterA=8 numReadsIterA=15 skipReadsIterA=6 readsPerIterA=1 */
/* dataAtIterB=8 numReadsIterB=15 skipReadsIterB=6 readsPerIterB=1 */


/* iter 19 (last unrolled loop) */

/*  grEndMfmaIndex:0, lwStartMfmaIndex:25, lwEndMfmaIndex:25  */
/*  numMfmaForLR:0, barrierMfmaIndex:31 */
/*  mfmaIndex:19  */
/* localReadsVacancy: latencyLeft 1 */
s_waitcnt lgkmcnt(12)                              // lgkmcnt=0 vmcnt=-1wait for prior local read local write old=0, new=12 newLW=0 newLR=12
v_mfma_f32_4x4x4bf16_1k a[0+0:3+0], v[vgprValuA_X18_I0+0+2+0:vgprValuA_X18_I0+0+2+0+1], v[vgprValuB_X18_I0+0+2+0:vgprValuB_X18_I0+0+2+0+1], a[0:3]
/* numPrefetchIter=0 */
/* dataAtIterA=8 numReadsIterA=15 skipReadsIterA=6 readsPerIterA=1 */
/* dataAtIterB=8 numReadsIterB=15 skipReadsIterB=6 readsPerIterB=1 */


/* iter 20 (last unrolled loop) */

/*  grEndMfmaIndex:0, lwStartMfmaIndex:25, lwEndMfmaIndex:25  */
/*  numMfmaForLR:0, barrierMfmaIndex:31 */
/*  mfmaIndex:20  */
/* localReadsVacancy: latencyLeft 1 */
s_waitcnt lgkmcnt(10)                              // lgkmcnt=0 vmcnt=-1wait for prior local read local write old=0, new=10 newLW=0 newLR=10
v_mfma_f32_4x4x4bf16_1k a[0+0:3+0], v[vgprValuA_X20_I0+0+0+0:vgprValuA_X20_I0+0+0+0+1], v[vgprValuB_X20_I0+0+0+0:vgprValuB_X20_I0+0+0+0+1], a[0:3]
/* numPrefetchIter=0 */
/* dataAtIterA=9 numReadsIterA=15 skipReadsIterA=5 readsPerIterA=1 */
/* dataAtIterB=9 numReadsIterB=15 skipReadsIterB=5 readsPerIterB=1 */


/* iter 21 (last unrolled loop) */

/*  grEndMfmaIndex:0, lwStartMfmaIndex:25, lwEndMfmaIndex:25  */
/*  numMfmaForLR:0, barrierMfmaIndex:31 */
/*  mfmaIndex:21  */
/* localReadsVacancy: latencyLeft 1 */
s_waitcnt lgkmcnt(10)                              // lgkmcnt=0 vmcnt=-1wait for prior local read local write old=0, new=10 newLW=0 newLR=10
v_mfma_f32_4x4x4bf16_1k a[0+0:3+0], v[vgprValuA_X20_I0+0+2+0:vgprValuA_X20_I0+0+2+0+1], v[vgprValuB_X20_I0+0+2+0:vgprValuB_X20_I0+0+2+0+1], a[0:3]
/* numPrefetchIter=0 */
/* dataAtIterA=9 numReadsIterA=15 skipReadsIterA=5 readsPerIterA=1 */
/* dataAtIterB=9 numReadsIterB=15 skipReadsIterB=5 readsPerIterB=1 */


/* iter 22 (last unrolled loop) */

/*  grEndMfmaIndex:0, lwStartMfmaIndex:25, lwEndMfmaIndex:25  */
/*  numMfmaForLR:0, barrierMfmaIndex:31 */
/*  mfmaIndex:22  */
/* localReadsVacancy: latencyLeft 1 */
s_waitcnt lgkmcnt(8)                               // lgkmcnt=0 vmcnt=-1wait for prior local read local write old=0, new=8 newLW=0 newLR=8
v_mfma_f32_4x4x4bf16_1k a[0+0:3+0], v[vgprValuA_X22_I0+0+0+0:vgprValuA_X22_I0+0+0+0+1], v[vgprValuB_X22_I0+0+0+0:vgprValuB_X22_I0+0+0+0+1], a[0:3]
/* numPrefetchIter=0 */
/* dataAtIterA=10 numReadsIterA=15 skipReadsIterA=4 readsPerIterA=1 */
/* dataAtIterB=10 numReadsIterB=15 skipReadsIterB=4 readsPerIterB=1 */


/* iter 23 (last unrolled loop) */

/*  grEndMfmaIndex:0, lwStartMfmaIndex:25, lwEndMfmaIndex:25  */
/*  numMfmaForLR:0, barrierMfmaIndex:31 */
/*  mfmaIndex:23  */
/* localReadsVacancy: latencyLeft 1 */
s_waitcnt lgkmcnt(8)                               // lgkmcnt=0 vmcnt=-1wait for prior local read local write old=0, new=8 newLW=0 newLR=8
v_mfma_f32_4x4x4bf16_1k a[0+0:3+0], v[vgprValuA_X22_I0+0+2+0:vgprValuA_X22_I0+0+2+0+1], v[vgprValuB_X22_I0+0+2+0:vgprValuB_X22_I0+0+2+0+1], a[0:3]
/* numPrefetchIter=0 */
/* dataAtIterA=10 numReadsIterA=15 skipReadsIterA=4 readsPerIterA=1 */
/* dataAtIterB=10 numReadsIterB=15 skipReadsIterB=4 readsPerIterB=1 */


/* iter 24 (last unrolled loop) */

/*  grEndMfmaIndex:0, lwStartMfmaIndex:25, lwEndMfmaIndex:25  */
/*  numMfmaForLR:0, barrierMfmaIndex:31 */
/*  mfmaIndex:24  */
/* localReadsVacancy: latencyLeft 1 */
/* 1 LDS buffer: read-sync-write */
s_waitcnt lgkmcnt(0)                               // 
s_barrier                                          // 
s_waitcnt lgkmcnt(6)                               // lgkmcnt=0 vmcnt=-1wait for prior local read local write old=0, new=6 newLW=0 newLR=6
v_mfma_f32_4x4x4bf16_1k a[0+0:3+0], v[vgprValuA_X24_I0+0+0+0:vgprValuA_X24_I0+0+0+0+1], v[vgprValuB_X24_I0+0+0+0:vgprValuB_X24_I0+0+0+0+1], a[0:3]
/* numPrefetchIter=0 */
/* dataAtIterA=11 numReadsIterA=15 skipReadsIterA=3 readsPerIterA=1 */
/* dataAtIterB=11 numReadsIterB=15 skipReadsIterB=3 readsPerIterB=1 */


/* iter 25 (last unrolled loop) */

/*  grEndMfmaIndex:0, lwStartMfmaIndex:25, lwEndMfmaIndex:25  */
/*  numMfmaForLR:0, barrierMfmaIndex:31 */
/*  mfmaIndex:25  */
/* localReadsVacancy: latencyLeft 1 */
s_waitcnt lgkmcnt(6)                               // lgkmcnt=0 vmcnt=-1wait for prior local read local write old=0, new=6 newLW=0 newLR=6
v_mfma_f32_4x4x4bf16_1k a[0+0:3+0], v[vgprValuA_X24_I0+0+2+0:vgprValuA_X24_I0+0+2+0+1], v[vgprValuB_X24_I0+0+2+0:vgprValuB_X24_I0+0+2+0+1], a[0:3]
/* numPrefetchIter=0 */
/* dataAtIterA=11 numReadsIterA=15 skipReadsIterA=3 readsPerIterA=1 */
/* dataAtIterB=11 numReadsIterB=15 skipReadsIterB=3 readsPerIterB=1 */


/* iter 26 (last unrolled loop) */

/*  grEndMfmaIndex:0, lwStartMfmaIndex:25, lwEndMfmaIndex:25  */
/*  numMfmaForLR:0, barrierMfmaIndex:31 */
/*  mfmaIndex:26  */
v_mfma_f32_4x4x4bf16_1k a[0+0:3+0], v[vgprValuA_X26_I0+0+0+0:vgprValuA_X26_I0+0+0+0+1], v[vgprValuB_X26_I0+0+0+0:vgprValuB_X26_I0+0+0+0+1], a[0:3]


/* iter 27 (last unrolled loop) */

/*  grEndMfmaIndex:0, lwStartMfmaIndex:25, lwEndMfmaIndex:25  */
/*  numMfmaForLR:0, barrierMfmaIndex:31 */
/*  mfmaIndex:27  */
v_mfma_f32_4x4x4bf16_1k a[0+0:3+0], v[vgprValuA_X26_I0+0+2+0:vgprValuA_X26_I0+0+2+0+1], v[vgprValuB_X26_I0+0+2+0:vgprValuB_X26_I0+0+2+0+1], a[0:3]


/* iter 28 (last unrolled loop) */

/*  grEndMfmaIndex:0, lwStartMfmaIndex:25, lwEndMfmaIndex:25  */
/*  numMfmaForLR:0, barrierMfmaIndex:31 */
/*  mfmaIndex:28  */
v_mfma_f32_4x4x4bf16_1k a[0+0:3+0], v[vgprValuA_X28_I0+0+0+0:vgprValuA_X28_I0+0+0+0+1], v[vgprValuB_X28_I0+0+0+0:vgprValuB_X28_I0+0+0+0+1], a[0:3]


/* iter 29 (last unrolled loop) */

/*  grEndMfmaIndex:0, lwStartMfmaIndex:25, lwEndMfmaIndex:25  */
/*  numMfmaForLR:0, barrierMfmaIndex:31 */
/*  mfmaIndex:29  */
v_mfma_f32_4x4x4bf16_1k a[0+0:3+0], v[vgprValuA_X28_I0+0+2+0:vgprValuA_X28_I0+0+2+0+1], v[vgprValuB_X28_I0+0+2+0:vgprValuB_X28_I0+0+2+0+1], a[0:3]


/* iter 30 (last unrolled loop) */

/*  grEndMfmaIndex:0, lwStartMfmaIndex:25, lwEndMfmaIndex:25  */
/*  numMfmaForLR:0, barrierMfmaIndex:31 */
/*  mfmaIndex:30  */
v_mfma_f32_4x4x4bf16_1k a[0+0:3+0], v[vgprValuA_X30_I0+0+0+0:vgprValuA_X30_I0+0+0+0+1], v[vgprValuB_X30_I0+0+0+0:vgprValuB_X30_I0+0+0+0+1], a[0:3]


/* iter 31 (last unrolled loop) */

/*  grEndMfmaIndex:0, lwStartMfmaIndex:25, lwEndMfmaIndex:25  */
/*  numMfmaForLR:0, barrierMfmaIndex:31 */
/*  mfmaIndex:31  */
v_mfma_f32_4x4x4bf16_1k a[0+0:3+0], v[vgprValuA_X30_I0+0+2+0:vgprValuA_X30_I0+0+2+0+1], v[vgprValuB_X30_I0+0+2+0:vgprValuB_X30_I0+0+2+0+1], a[0:3]

/* Stores for OptNLL */
Summation_End_OptNLL_16:
s_setprio 0                                        // optimization store
/* endSummation: add vgpr [0...198) to pool */
.set NumFullBlocks, UNDEF
.set WgmRemainder1, UNDEF
.set MagicNumberWgmRemainder1, UNDEF
.set ScalarGlobalReadOffsetA, UNDEF

/* Mapping of Acc register -> C Vgpr register */
/* computeStoreVgprs */
v_lshrrev_b32 v4, 6, v[vgprSerial]                 // v4 = v[vgprSerial] / 64
v_lshrrev_b32 v1, 1, v4                            // v1 = v4 / 2
v_mul_lo_u32 v1, 0x4, v1                           // wave coordination offset 1
v_and_b32 v5, 3, v[vgprSerial]                     // v5 = v[vgprSerial] % 4
_v_add_lshl_u32 v1, v5, v1, 0                      // coordination 1 = vwb *(wave_id1 + tid1)
v_mul_lo_u32 v2, v1, s[sgprStrideC1J]              //  offset 1
v_mul_lo_u32 v3, v1, s[sgprStrideD1J]              //  offset 1
v_and_b32 v0, 63, v[vgprSerial]                    // v0 = v[vgprSerial] % 64
v_lshrrev_b32 v0, 2, v0                            // v0 = v0 / 4
v_lshlrev_b32 v0, 0x2, v0                          // thread0 * continuous_output
v_and_b32 v5, 1, v4                                // v5 = v4 % 2
v_mul_lo_u32 v5, 0x40, v5                          // wave coordination offset 0
_v_add_lshl_u32 v0, v5, v0, 0                      // coordination 0 = vwa *(wave_id0 + tid0)
s_mul_i32 s31, 128, s[sgprWorkGroup0]              // wgp0 * MT0
_v_add_u32 v0, s31, v0                             // coord 0 = (tid0/MI_m)*4 + waveG0*MIB_m + MT0*SG0
s_mul_i32 s31, 4, s[sgprWorkGroup1]                // wgp1 * MT1
_v_add_u32 v1, s31, v1                             // coord 1 = (tid0%MI_m) + waveG1*MIB_n + MT1*SG1
GW_B0_E0_19:

/* edge=0, allocate 2 sgpr. perBatchTmpS=2 perBatchMaskS=0 perElementMaskS=0 elementsPerBatch=58 */
/* optSingleColVgpr=1 optSharedColVgpr=0 optSGPRUsage=BufferLoad_Mask optSrdIncForRow=1 */
s_sleep 3 // optimization: sync and wait
s_barrier

/******************************************/
/* Global Write Batch #0 (d1,d0,vc1,vc0) = */
/*    (0,0,0,0:vw4)                       */
/******************************************/

/* calc coords, apply mask, and issue loads (if necessary) */
/* (d1,vc1,d0,vc0)=(0,0,0,0) */
_v_add_lshl_u32 v10, v3, v0, 0x1                   // optSingleColVgpr scaleToBpe: sharedAddrVgpr <- cinRowPtr + coord0, scaled by BPE. BSHERE:coord0=0, coord0Vgpr=0
v_accvgpr_read_b32 v[vgprValuC+12], acc0 // copy acc to vreg[0]
v_accvgpr_read_b32 v[vgprValuC+13], acc1 // copy acc to vreg[1]
v_accvgpr_read_b32 v[vgprValuC+14], acc2 // copy acc to vreg[2]
v_accvgpr_read_b32 v[vgprValuC+15], acc3 // copy acc to vreg[3]
s_nop 1                                            // 2 wait states required before reading vgpr

/* apply mask, calc new C and issue writes */
v_mov_b32 v7, 0xffff0000                           // mask for pack two bfloat16 element to 32bit
v_mov_b32 v8, 0x7fff0000                           // fp32 Nan
v_mov_b32 v9, 0x7fff                               // rounding bias for bfloat16
v_cmp_u_f32 s[32:33], v[vgprValuC+12], v[vgprValuC+12] // check Nan
v_bfe_u32 v6, v[vgprValuC+12], 16, 1               // Non-Nan case: store lsb of bf16
v_add3_u32 v6, v[vgprValuC+12], v6, v9             // Non-Nan case: add lsb and the increment for rounding
v_cndmask_b32 v[vgprValuC+12], v6, v8, s[32:33]    // 
v_lshrrev_b32 v[vgprValuC+12], 16, v[vgprValuC+12] // convert C to bf16
v_cmp_u_f32 s[32:33], v[vgprValuC+13], v[vgprValuC+13] // check Nan
v_bfe_u32 v6, v[vgprValuC+13], 16, 1               // Non-Nan case: store lsb of bf16
v_add3_u32 v6, v[vgprValuC+13], v6, v9             // Non-Nan case: add lsb and the increment for rounding
v_cndmask_b32 v[vgprValuC+13], v6, v8, s[32:33]    // 
v_and_or_b32 v12, v[vgprValuC+13], v7, v[vgprValuC+12] // pack two bf16 to dword
v_cmp_u_f32 s[32:33], v[vgprValuC+14], v[vgprValuC+14] // check Nan
v_bfe_u32 v6, v[vgprValuC+14], 16, 1               // Non-Nan case: store lsb of bf16
v_add3_u32 v6, v[vgprValuC+14], v6, v9             // Non-Nan case: add lsb and the increment for rounding
v_cndmask_b32 v[vgprValuC+14], v6, v8, s[32:33]    // 
v_lshrrev_b32 v[vgprValuC+14], 16, v[vgprValuC+14] // convert C to bf16
v_cmp_u_f32 s[32:33], v[vgprValuC+15], v[vgprValuC+15] // check Nan
v_bfe_u32 v6, v[vgprValuC+15], 16, 1               // Non-Nan case: store lsb of bf16
v_add3_u32 v6, v[vgprValuC+15], v6, v9             // Non-Nan case: add lsb and the increment for rounding
v_cndmask_b32 v[vgprValuC+15], v6, v8, s[32:33]    // 
v_and_or_b32 v13, v[vgprValuC+15], v7, v[vgprValuC+14] // pack two bf16 to dword
_buffer_store_b64 v[12:13], v10, s[sgprSrdD:sgprSrdD+3], 0, offen, offset:0 // store D
s_nop 0                                            // 1 wait state required when next inst writes vgprs held by previous dwordx4 store inst
s_branch label_GW_End_21                           // jump to end
label_GW_End_21:

s_endpgm                                           // Kernel End
OptNLL_End_15:


/******************************************/
/* Ord. NoLoadLoop - Begin                                      */
/******************************************/


	;; [unrolled: 1-line block ×4, first 2 shown]
/* iter 0 (last unrolled loop) */

/*  grEndMfmaIndex:0, lwStartMfmaIndex:25, lwEndMfmaIndex:25  */
/*  numMfmaForLR:0, barrierMfmaIndex:31 */
/*  mfmaIndex:0  */
_ds_load_b128 v[vgprValuA_X2_I0+0:vgprValuA_X2_I0+0+3], v[vgprLocalReadAddrA] offset:16 // L -> Reg lro=8 swapByteOffset=0 ti=128 vIdx=0 rIdx=0 oIdx=0 buffer=2 iui=0
_ds_load_b128 v[vgprValuB_X2_I0+0:vgprValuB_X2_I0+0+3], v[vgprLocalReadAddrB] offset:16 // L -> Reg lro=8 swapByteOffset=0 ti=4 vIdx=0 rIdx=0 oIdx=0 buffer=2 iui=0
s_waitcnt lgkmcnt(2)                               // lgkmcnt=0 vmcnt=-1wait for prior local read local write old=0, new=2 newLW=0 newLR=2
v_mfma_f32_4x4x4bf16_1k a[0+0:3+0], v[vgprValuA_X0_I0+0+0+0:vgprValuA_X0_I0+0+0+0+1], v[vgprValuB_X0_I0+0+0+0:vgprValuB_X0_I0+0+0+0+1], a[0:3]
/* numPrefetchIter=0 */
/* dataAtIterA=-1 numReadsIterA=1 skipReadsIterA=1 readsPerIterA=1 */
/* dataAtIterB=-1 numReadsIterB=1 skipReadsIterB=1 readsPerIterB=1 */


/* iter 1 (last unrolled loop) */

/*  grEndMfmaIndex:0, lwStartMfmaIndex:25, lwEndMfmaIndex:25  */
/*  numMfmaForLR:0, barrierMfmaIndex:31 */
/*  mfmaIndex:1  */
_ds_load_b128 v[vgprValuA_X4_I0+0:vgprValuA_X4_I0+0+3], v[vgprLocalReadAddrA] offset:32 // L -> Reg lro=16 swapByteOffset=0 ti=128 vIdx=0 rIdx=0 oIdx=0 buffer=4 iui=0
_ds_load_b128 v[vgprValuB_X4_I0+0:vgprValuB_X4_I0+0+3], v[vgprLocalReadAddrB] offset:32 // L -> Reg lro=16 swapByteOffset=0 ti=4 vIdx=0 rIdx=0 oIdx=0 buffer=4 iui=0
s_waitcnt lgkmcnt(4)                               // lgkmcnt=0 vmcnt=-1wait for prior local read local write old=0, new=4 newLW=0 newLR=4
v_mfma_f32_4x4x4bf16_1k a[0+0:3+0], v[vgprValuA_X0_I0+0+2+0:vgprValuA_X0_I0+0+2+0+1], v[vgprValuB_X0_I0+0+2+0:vgprValuB_X0_I0+0+2+0+1], a[0:3]
/* numPrefetchIter=0 */
/* dataAtIterA=-1 numReadsIterA=2 skipReadsIterA=2 readsPerIterA=1 */
/* dataAtIterB=-1 numReadsIterB=2 skipReadsIterB=2 readsPerIterB=1 */


/* iter 2 (last unrolled loop) */

/*  grEndMfmaIndex:0, lwStartMfmaIndex:25, lwEndMfmaIndex:25  */
/*  numMfmaForLR:0, barrierMfmaIndex:31 */
/*  mfmaIndex:2  */
_ds_load_b128 v[vgprValuA_X6_I0+0:vgprValuA_X6_I0+0+3], v[vgprLocalReadAddrA] offset:48 // L -> Reg lro=24 swapByteOffset=0 ti=128 vIdx=0 rIdx=0 oIdx=0 buffer=6 iui=0
_ds_load_b128 v[vgprValuB_X6_I0+0:vgprValuB_X6_I0+0+3], v[vgprLocalReadAddrB] offset:48 // L -> Reg lro=24 swapByteOffset=0 ti=4 vIdx=0 rIdx=0 oIdx=0 buffer=6 iui=0
s_waitcnt lgkmcnt(4)                               // lgkmcnt=0 vmcnt=-1wait for prior local read local write old=0, new=4 newLW=0 newLR=4
v_mfma_f32_4x4x4bf16_1k a[0+0:3+0], v[vgprValuA_X2_I0+0+0+0:vgprValuA_X2_I0+0+0+0+1], v[vgprValuB_X2_I0+0+0+0:vgprValuB_X2_I0+0+0+0+1], a[0:3]
/* numPrefetchIter=0 */
/* dataAtIterA=0 numReadsIterA=3 skipReadsIterA=2 readsPerIterA=1 */
/* dataAtIterB=0 numReadsIterB=3 skipReadsIterB=2 readsPerIterB=1 */


/* iter 3 (last unrolled loop) */

/*  grEndMfmaIndex:0, lwStartMfmaIndex:25, lwEndMfmaIndex:25  */
/*  numMfmaForLR:0, barrierMfmaIndex:31 */
/*  mfmaIndex:3  */
_ds_load_b128 v[vgprValuA_X8_I0+0:vgprValuA_X8_I0+0+3], v[vgprLocalReadAddrA] offset:64 // L -> Reg lro=32 swapByteOffset=0 ti=128 vIdx=0 rIdx=0 oIdx=0 buffer=8 iui=0
_ds_load_b128 v[vgprValuB_X8_I0+0:vgprValuB_X8_I0+0+3], v[vgprLocalReadAddrB] offset:64 // L -> Reg lro=32 swapByteOffset=0 ti=4 vIdx=0 rIdx=0 oIdx=0 buffer=8 iui=0
s_waitcnt lgkmcnt(6)                               // lgkmcnt=0 vmcnt=-1wait for prior local read local write old=0, new=6 newLW=0 newLR=6
v_mfma_f32_4x4x4bf16_1k a[0+0:3+0], v[vgprValuA_X2_I0+0+2+0:vgprValuA_X2_I0+0+2+0+1], v[vgprValuB_X2_I0+0+2+0:vgprValuB_X2_I0+0+2+0+1], a[0:3]
/* numPrefetchIter=0 */
/* dataAtIterA=0 numReadsIterA=4 skipReadsIterA=3 readsPerIterA=1 */
/* dataAtIterB=0 numReadsIterB=4 skipReadsIterB=3 readsPerIterB=1 */


/* iter 4 (last unrolled loop) */

/*  grEndMfmaIndex:0, lwStartMfmaIndex:25, lwEndMfmaIndex:25  */
/*  numMfmaForLR:0, barrierMfmaIndex:31 */
/*  mfmaIndex:4  */
_ds_load_b128 v[vgprValuA_X10_I0+0:vgprValuA_X10_I0+0+3], v[vgprLocalReadAddrA] offset:80 // L -> Reg lro=40 swapByteOffset=0 ti=128 vIdx=0 rIdx=0 oIdx=0 buffer=10 iui=0
_ds_load_b128 v[vgprValuB_X10_I0+0:vgprValuB_X10_I0+0+3], v[vgprLocalReadAddrB] offset:80 // L -> Reg lro=40 swapByteOffset=0 ti=4 vIdx=0 rIdx=0 oIdx=0 buffer=10 iui=0
s_waitcnt lgkmcnt(6)                               // lgkmcnt=0 vmcnt=-1wait for prior local read local write old=0, new=6 newLW=0 newLR=6
v_mfma_f32_4x4x4bf16_1k a[0+0:3+0], v[vgprValuA_X4_I0+0+0+0:vgprValuA_X4_I0+0+0+0+1], v[vgprValuB_X4_I0+0+0+0:vgprValuB_X4_I0+0+0+0+1], a[0:3]
/* numPrefetchIter=0 */
/* dataAtIterA=1 numReadsIterA=5 skipReadsIterA=3 readsPerIterA=1 */
/* dataAtIterB=1 numReadsIterB=5 skipReadsIterB=3 readsPerIterB=1 */


/* iter 5 (last unrolled loop) */

/*  grEndMfmaIndex:0, lwStartMfmaIndex:25, lwEndMfmaIndex:25  */
/*  numMfmaForLR:0, barrierMfmaIndex:31 */
/*  mfmaIndex:5  */
_ds_load_b128 v[vgprValuA_X12_I0+0:vgprValuA_X12_I0+0+3], v[vgprLocalReadAddrA] offset:96 // L -> Reg lro=48 swapByteOffset=0 ti=128 vIdx=0 rIdx=0 oIdx=0 buffer=12 iui=0
_ds_load_b128 v[vgprValuB_X12_I0+0:vgprValuB_X12_I0+0+3], v[vgprLocalReadAddrB] offset:96 // L -> Reg lro=48 swapByteOffset=0 ti=4 vIdx=0 rIdx=0 oIdx=0 buffer=12 iui=0
s_waitcnt lgkmcnt(8)                               // lgkmcnt=0 vmcnt=-1wait for prior local read local write old=0, new=8 newLW=0 newLR=8
v_mfma_f32_4x4x4bf16_1k a[0+0:3+0], v[vgprValuA_X4_I0+0+2+0:vgprValuA_X4_I0+0+2+0+1], v[vgprValuB_X4_I0+0+2+0:vgprValuB_X4_I0+0+2+0+1], a[0:3]
/* numPrefetchIter=0 */
/* dataAtIterA=1 numReadsIterA=6 skipReadsIterA=4 readsPerIterA=1 */
/* dataAtIterB=1 numReadsIterB=6 skipReadsIterB=4 readsPerIterB=1 */


/* iter 6 (last unrolled loop) */

/*  grEndMfmaIndex:0, lwStartMfmaIndex:25, lwEndMfmaIndex:25  */
/*  numMfmaForLR:0, barrierMfmaIndex:31 */
/*  mfmaIndex:6  */
_ds_load_b128 v[vgprValuA_X14_I0+0:vgprValuA_X14_I0+0+3], v[vgprLocalReadAddrA] offset:112 // L -> Reg lro=56 swapByteOffset=0 ti=128 vIdx=0 rIdx=0 oIdx=0 buffer=14 iui=0
_ds_load_b128 v[vgprValuB_X14_I0+0:vgprValuB_X14_I0+0+3], v[vgprLocalReadAddrB] offset:112 // L -> Reg lro=56 swapByteOffset=0 ti=4 vIdx=0 rIdx=0 oIdx=0 buffer=14 iui=0
s_waitcnt lgkmcnt(8)                               // lgkmcnt=0 vmcnt=-1wait for prior local read local write old=0, new=8 newLW=0 newLR=8
v_mfma_f32_4x4x4bf16_1k a[0+0:3+0], v[vgprValuA_X6_I0+0+0+0:vgprValuA_X6_I0+0+0+0+1], v[vgprValuB_X6_I0+0+0+0:vgprValuB_X6_I0+0+0+0+1], a[0:3]
/* numPrefetchIter=0 */
/* dataAtIterA=2 numReadsIterA=7 skipReadsIterA=4 readsPerIterA=1 */
/* dataAtIterB=2 numReadsIterB=7 skipReadsIterB=4 readsPerIterB=1 */


/* iter 7 (last unrolled loop) */

/*  grEndMfmaIndex:0, lwStartMfmaIndex:25, lwEndMfmaIndex:25  */
/*  numMfmaForLR:0, barrierMfmaIndex:31 */
/*  mfmaIndex:7  */
_ds_load_b128 v[vgprValuA_X16_I0+0:vgprValuA_X16_I0+0+3], v[vgprLocalReadAddrA] offset:128 // L -> Reg lro=64 swapByteOffset=0 ti=128 vIdx=0 rIdx=0 oIdx=0 buffer=16 iui=0
_ds_load_b128 v[vgprValuB_X16_I0+0:vgprValuB_X16_I0+0+3], v[vgprLocalReadAddrB] offset:128 // L -> Reg lro=64 swapByteOffset=0 ti=4 vIdx=0 rIdx=0 oIdx=0 buffer=16 iui=0
s_waitcnt lgkmcnt(10)                              // lgkmcnt=0 vmcnt=-1wait for prior local read local write old=0, new=10 newLW=0 newLR=10
v_mfma_f32_4x4x4bf16_1k a[0+0:3+0], v[vgprValuA_X6_I0+0+2+0:vgprValuA_X6_I0+0+2+0+1], v[vgprValuB_X6_I0+0+2+0:vgprValuB_X6_I0+0+2+0+1], a[0:3]
/* numPrefetchIter=0 */
/* dataAtIterA=2 numReadsIterA=8 skipReadsIterA=5 readsPerIterA=1 */
/* dataAtIterB=2 numReadsIterB=8 skipReadsIterB=5 readsPerIterB=1 */


/* iter 8 (last unrolled loop) */

/*  grEndMfmaIndex:0, lwStartMfmaIndex:25, lwEndMfmaIndex:25  */
/*  numMfmaForLR:0, barrierMfmaIndex:31 */
/*  mfmaIndex:8  */
_ds_load_b128 v[vgprValuA_X18_I0+0:vgprValuA_X18_I0+0+3], v[vgprLocalReadAddrA] offset:144 // L -> Reg lro=72 swapByteOffset=0 ti=128 vIdx=0 rIdx=0 oIdx=0 buffer=18 iui=0
_ds_load_b128 v[vgprValuB_X18_I0+0:vgprValuB_X18_I0+0+3], v[vgprLocalReadAddrB] offset:144 // L -> Reg lro=72 swapByteOffset=0 ti=4 vIdx=0 rIdx=0 oIdx=0 buffer=18 iui=0
s_waitcnt lgkmcnt(10)                              // lgkmcnt=0 vmcnt=-1wait for prior local read local write old=0, new=10 newLW=0 newLR=10
v_mfma_f32_4x4x4bf16_1k a[0+0:3+0], v[vgprValuA_X8_I0+0+0+0:vgprValuA_X8_I0+0+0+0+1], v[vgprValuB_X8_I0+0+0+0:vgprValuB_X8_I0+0+0+0+1], a[0:3]
/* numPrefetchIter=0 */
/* dataAtIterA=3 numReadsIterA=9 skipReadsIterA=5 readsPerIterA=1 */
/* dataAtIterB=3 numReadsIterB=9 skipReadsIterB=5 readsPerIterB=1 */


/* iter 9 (last unrolled loop) */

/*  grEndMfmaIndex:0, lwStartMfmaIndex:25, lwEndMfmaIndex:25  */
/*  numMfmaForLR:0, barrierMfmaIndex:31 */
/*  mfmaIndex:9  */
_ds_load_b128 v[vgprValuA_X20_I0+0:vgprValuA_X20_I0+0+3], v[vgprLocalReadAddrA] offset:160 // L -> Reg lro=80 swapByteOffset=0 ti=128 vIdx=0 rIdx=0 oIdx=0 buffer=20 iui=0
_ds_load_b128 v[vgprValuB_X20_I0+0:vgprValuB_X20_I0+0+3], v[vgprLocalReadAddrB] offset:160 // L -> Reg lro=80 swapByteOffset=0 ti=4 vIdx=0 rIdx=0 oIdx=0 buffer=20 iui=0
s_waitcnt lgkmcnt(12)                              // lgkmcnt=0 vmcnt=-1wait for prior local read local write old=0, new=12 newLW=0 newLR=12
v_mfma_f32_4x4x4bf16_1k a[0+0:3+0], v[vgprValuA_X8_I0+0+2+0:vgprValuA_X8_I0+0+2+0+1], v[vgprValuB_X8_I0+0+2+0:vgprValuB_X8_I0+0+2+0+1], a[0:3]
/* numPrefetchIter=0 */
/* dataAtIterA=3 numReadsIterA=10 skipReadsIterA=6 readsPerIterA=1 */
/* dataAtIterB=3 numReadsIterB=10 skipReadsIterB=6 readsPerIterB=1 */


/* iter 10 (last unrolled loop) */

/*  grEndMfmaIndex:0, lwStartMfmaIndex:25, lwEndMfmaIndex:25  */
/*  numMfmaForLR:0, barrierMfmaIndex:31 */
/*  mfmaIndex:10  */
_ds_load_b128 v[vgprValuA_X22_I0+0:vgprValuA_X22_I0+0+3], v[vgprLocalReadAddrA] offset:176 // L -> Reg lro=88 swapByteOffset=0 ti=128 vIdx=0 rIdx=0 oIdx=0 buffer=22 iui=0
_ds_load_b128 v[vgprValuB_X22_I0+0:vgprValuB_X22_I0+0+3], v[vgprLocalReadAddrB] offset:176 // L -> Reg lro=88 swapByteOffset=0 ti=4 vIdx=0 rIdx=0 oIdx=0 buffer=22 iui=0
s_waitcnt lgkmcnt(12)                              // lgkmcnt=0 vmcnt=-1wait for prior local read local write old=0, new=12 newLW=0 newLR=12
v_mfma_f32_4x4x4bf16_1k a[0+0:3+0], v[vgprValuA_X10_I0+0+0+0:vgprValuA_X10_I0+0+0+0+1], v[vgprValuB_X10_I0+0+0+0:vgprValuB_X10_I0+0+0+0+1], a[0:3]
/* numPrefetchIter=0 */
/* dataAtIterA=4 numReadsIterA=11 skipReadsIterA=6 readsPerIterA=1 */
/* dataAtIterB=4 numReadsIterB=11 skipReadsIterB=6 readsPerIterB=1 */


/* iter 11 (last unrolled loop) */

/*  grEndMfmaIndex:0, lwStartMfmaIndex:25, lwEndMfmaIndex:25  */
/*  numMfmaForLR:0, barrierMfmaIndex:31 */
/*  mfmaIndex:11  */
_ds_load_b128 v[vgprValuA_X24_I0+0:vgprValuA_X24_I0+0+3], v[vgprLocalReadAddrA] offset:192 // L -> Reg lro=96 swapByteOffset=0 ti=128 vIdx=0 rIdx=0 oIdx=0 buffer=24 iui=0
_ds_load_b128 v[vgprValuB_X24_I0+0:vgprValuB_X24_I0+0+3], v[vgprLocalReadAddrB] offset:192 // L -> Reg lro=96 swapByteOffset=0 ti=4 vIdx=0 rIdx=0 oIdx=0 buffer=24 iui=0
s_waitcnt lgkmcnt(14)                              // lgkmcnt=0 vmcnt=-1wait for prior local read local write old=0, new=14 newLW=0 newLR=14
v_mfma_f32_4x4x4bf16_1k a[0+0:3+0], v[vgprValuA_X10_I0+0+2+0:vgprValuA_X10_I0+0+2+0+1], v[vgprValuB_X10_I0+0+2+0:vgprValuB_X10_I0+0+2+0+1], a[0:3]
/* numPrefetchIter=0 */
/* dataAtIterA=4 numReadsIterA=12 skipReadsIterA=7 readsPerIterA=1 */
/* dataAtIterB=4 numReadsIterB=12 skipReadsIterB=7 readsPerIterB=1 */


/* iter 12 (last unrolled loop) */

/*  grEndMfmaIndex:0, lwStartMfmaIndex:25, lwEndMfmaIndex:25  */
/*  numMfmaForLR:0, barrierMfmaIndex:31 */
/*  mfmaIndex:12  */
_ds_load_b128 v[vgprValuA_X26_I0+0:vgprValuA_X26_I0+0+3], v[vgprLocalReadAddrA] offset:208 // L -> Reg lro=104 swapByteOffset=0 ti=128 vIdx=0 rIdx=0 oIdx=0 buffer=26 iui=0
_ds_load_b128 v[vgprValuB_X26_I0+0:vgprValuB_X26_I0+0+3], v[vgprLocalReadAddrB] offset:208 // L -> Reg lro=104 swapByteOffset=0 ti=4 vIdx=0 rIdx=0 oIdx=0 buffer=26 iui=0
s_waitcnt lgkmcnt(14)                              // lgkmcnt=0 vmcnt=-1wait for prior local read local write old=0, new=14 newLW=0 newLR=14
v_mfma_f32_4x4x4bf16_1k a[0+0:3+0], v[vgprValuA_X12_I0+0+0+0:vgprValuA_X12_I0+0+0+0+1], v[vgprValuB_X12_I0+0+0+0:vgprValuB_X12_I0+0+0+0+1], a[0:3]
/* numPrefetchIter=0 */
/* dataAtIterA=5 numReadsIterA=13 skipReadsIterA=7 readsPerIterA=1 */
/* dataAtIterB=5 numReadsIterB=13 skipReadsIterB=7 readsPerIterB=1 */


/* iter 13 (last unrolled loop) */

/*  grEndMfmaIndex:0, lwStartMfmaIndex:25, lwEndMfmaIndex:25  */
/*  numMfmaForLR:0, barrierMfmaIndex:31 */
/*  mfmaIndex:13  */
_ds_load_b128 v[vgprValuA_X28_I0+0:vgprValuA_X28_I0+0+3], v[vgprLocalReadAddrA] offset:224 // L -> Reg lro=112 swapByteOffset=0 ti=128 vIdx=0 rIdx=0 oIdx=0 buffer=28 iui=0
_ds_load_b128 v[vgprValuB_X28_I0+0:vgprValuB_X28_I0+0+3], v[vgprLocalReadAddrB] offset:224 // L -> Reg lro=112 swapByteOffset=0 ti=4 vIdx=0 rIdx=0 oIdx=0 buffer=28 iui=0
s_waitcnt lgkmcnt(15)                              // lgkmcnt=0 vmcnt=-1wait for prior local read local write old=0, new=16 newLW=0 newLR=16
v_mfma_f32_4x4x4bf16_1k a[0+0:3+0], v[vgprValuA_X12_I0+0+2+0:vgprValuA_X12_I0+0+2+0+1], v[vgprValuB_X12_I0+0+2+0:vgprValuB_X12_I0+0+2+0+1], a[0:3]
/* numPrefetchIter=0 */
/* dataAtIterA=5 numReadsIterA=14 skipReadsIterA=8 readsPerIterA=1 */
/* dataAtIterB=5 numReadsIterB=14 skipReadsIterB=8 readsPerIterB=1 */


/* iter 14 (last unrolled loop) */

/*  grEndMfmaIndex:0, lwStartMfmaIndex:25, lwEndMfmaIndex:25  */
/*  numMfmaForLR:0, barrierMfmaIndex:31 */
/*  mfmaIndex:14  */
_ds_load_b128 v[vgprValuA_X30_I0+0:vgprValuA_X30_I0+0+3], v[vgprLocalReadAddrA] offset:240 // L -> Reg lro=120 swapByteOffset=0 ti=128 vIdx=0 rIdx=0 oIdx=0 buffer=30 iui=0
_ds_load_b128 v[vgprValuB_X30_I0+0:vgprValuB_X30_I0+0+3], v[vgprLocalReadAddrB] offset:240 // L -> Reg lro=120 swapByteOffset=0 ti=4 vIdx=0 rIdx=0 oIdx=0 buffer=30 iui=0
s_waitcnt lgkmcnt(15)                              // lgkmcnt=0 vmcnt=-1wait for prior local read local write old=0, new=16 newLW=0 newLR=16
v_mfma_f32_4x4x4bf16_1k a[0+0:3+0], v[vgprValuA_X14_I0+0+0+0:vgprValuA_X14_I0+0+0+0+1], v[vgprValuB_X14_I0+0+0+0:vgprValuB_X14_I0+0+0+0+1], a[0:3]
/* numPrefetchIter=0 */
/* dataAtIterA=6 numReadsIterA=15 skipReadsIterA=8 readsPerIterA=1 */
/* dataAtIterB=6 numReadsIterB=15 skipReadsIterB=8 readsPerIterB=1 */


/* iter 15 (last unrolled loop) */

/*  grEndMfmaIndex:0, lwStartMfmaIndex:25, lwEndMfmaIndex:25  */
/*  numMfmaForLR:0, barrierMfmaIndex:31 */
/*  mfmaIndex:15  */
/* localReadsVacancy: latencyLeft 1 */
s_waitcnt lgkmcnt(15)                              // lgkmcnt=0 vmcnt=-1wait for prior local read local write old=0, new=16 newLW=0 newLR=16
v_mfma_f32_4x4x4bf16_1k a[0+0:3+0], v[vgprValuA_X14_I0+0+2+0:vgprValuA_X14_I0+0+2+0+1], v[vgprValuB_X14_I0+0+2+0:vgprValuB_X14_I0+0+2+0+1], a[0:3]
/* numPrefetchIter=0 */
/* dataAtIterA=6 numReadsIterA=15 skipReadsIterA=8 readsPerIterA=1 */
/* dataAtIterB=6 numReadsIterB=15 skipReadsIterB=8 readsPerIterB=1 */


/* iter 16 (last unrolled loop) */

/*  grEndMfmaIndex:0, lwStartMfmaIndex:25, lwEndMfmaIndex:25  */
/*  numMfmaForLR:0, barrierMfmaIndex:31 */
/*  mfmaIndex:16  */
/* localReadsVacancy: latencyLeft 1 */
s_waitcnt lgkmcnt(14)                              // lgkmcnt=0 vmcnt=-1wait for prior local read local write old=0, new=14 newLW=0 newLR=14
v_mfma_f32_4x4x4bf16_1k a[0+0:3+0], v[vgprValuA_X16_I0+0+0+0:vgprValuA_X16_I0+0+0+0+1], v[vgprValuB_X16_I0+0+0+0:vgprValuB_X16_I0+0+0+0+1], a[0:3]
/* numPrefetchIter=0 */
/* dataAtIterA=7 numReadsIterA=15 skipReadsIterA=7 readsPerIterA=1 */
/* dataAtIterB=7 numReadsIterB=15 skipReadsIterB=7 readsPerIterB=1 */


/* iter 17 (last unrolled loop) */

/*  grEndMfmaIndex:0, lwStartMfmaIndex:25, lwEndMfmaIndex:25  */
/*  numMfmaForLR:0, barrierMfmaIndex:31 */
/*  mfmaIndex:17  */
/* localReadsVacancy: latencyLeft 1 */
s_waitcnt lgkmcnt(14)                              // lgkmcnt=0 vmcnt=-1wait for prior local read local write old=0, new=14 newLW=0 newLR=14
v_mfma_f32_4x4x4bf16_1k a[0+0:3+0], v[vgprValuA_X16_I0+0+2+0:vgprValuA_X16_I0+0+2+0+1], v[vgprValuB_X16_I0+0+2+0:vgprValuB_X16_I0+0+2+0+1], a[0:3]
/* numPrefetchIter=0 */
/* dataAtIterA=7 numReadsIterA=15 skipReadsIterA=7 readsPerIterA=1 */
/* dataAtIterB=7 numReadsIterB=15 skipReadsIterB=7 readsPerIterB=1 */


/* iter 18 (last unrolled loop) */

/*  grEndMfmaIndex:0, lwStartMfmaIndex:25, lwEndMfmaIndex:25  */
/*  numMfmaForLR:0, barrierMfmaIndex:31 */
/*  mfmaIndex:18  */
/* localReadsVacancy: latencyLeft 1 */
s_waitcnt lgkmcnt(12)                              // lgkmcnt=0 vmcnt=-1wait for prior local read local write old=0, new=12 newLW=0 newLR=12
v_mfma_f32_4x4x4bf16_1k a[0+0:3+0], v[vgprValuA_X18_I0+0+0+0:vgprValuA_X18_I0+0+0+0+1], v[vgprValuB_X18_I0+0+0+0:vgprValuB_X18_I0+0+0+0+1], a[0:3]
/* numPrefetchIter=0 */
/* dataAtIterA=8 numReadsIterA=15 skipReadsIterA=6 readsPerIterA=1 */
/* dataAtIterB=8 numReadsIterB=15 skipReadsIterB=6 readsPerIterB=1 */


/* iter 19 (last unrolled loop) */

/*  grEndMfmaIndex:0, lwStartMfmaIndex:25, lwEndMfmaIndex:25  */
/*  numMfmaForLR:0, barrierMfmaIndex:31 */
/*  mfmaIndex:19  */
/* localReadsVacancy: latencyLeft 1 */
s_waitcnt lgkmcnt(12)                              // lgkmcnt=0 vmcnt=-1wait for prior local read local write old=0, new=12 newLW=0 newLR=12
v_mfma_f32_4x4x4bf16_1k a[0+0:3+0], v[vgprValuA_X18_I0+0+2+0:vgprValuA_X18_I0+0+2+0+1], v[vgprValuB_X18_I0+0+2+0:vgprValuB_X18_I0+0+2+0+1], a[0:3]
/* numPrefetchIter=0 */
/* dataAtIterA=8 numReadsIterA=15 skipReadsIterA=6 readsPerIterA=1 */
/* dataAtIterB=8 numReadsIterB=15 skipReadsIterB=6 readsPerIterB=1 */


/* iter 20 (last unrolled loop) */

/*  grEndMfmaIndex:0, lwStartMfmaIndex:25, lwEndMfmaIndex:25  */
/*  numMfmaForLR:0, barrierMfmaIndex:31 */
/*  mfmaIndex:20  */
/* localReadsVacancy: latencyLeft 1 */
s_waitcnt lgkmcnt(10)                              // lgkmcnt=0 vmcnt=-1wait for prior local read local write old=0, new=10 newLW=0 newLR=10
v_mfma_f32_4x4x4bf16_1k a[0+0:3+0], v[vgprValuA_X20_I0+0+0+0:vgprValuA_X20_I0+0+0+0+1], v[vgprValuB_X20_I0+0+0+0:vgprValuB_X20_I0+0+0+0+1], a[0:3]
/* numPrefetchIter=0 */
/* dataAtIterA=9 numReadsIterA=15 skipReadsIterA=5 readsPerIterA=1 */
/* dataAtIterB=9 numReadsIterB=15 skipReadsIterB=5 readsPerIterB=1 */


/* iter 21 (last unrolled loop) */

/*  grEndMfmaIndex:0, lwStartMfmaIndex:25, lwEndMfmaIndex:25  */
/*  numMfmaForLR:0, barrierMfmaIndex:31 */
/*  mfmaIndex:21  */
/* localReadsVacancy: latencyLeft 1 */
s_waitcnt lgkmcnt(10)                              // lgkmcnt=0 vmcnt=-1wait for prior local read local write old=0, new=10 newLW=0 newLR=10
v_mfma_f32_4x4x4bf16_1k a[0+0:3+0], v[vgprValuA_X20_I0+0+2+0:vgprValuA_X20_I0+0+2+0+1], v[vgprValuB_X20_I0+0+2+0:vgprValuB_X20_I0+0+2+0+1], a[0:3]
/* numPrefetchIter=0 */
/* dataAtIterA=9 numReadsIterA=15 skipReadsIterA=5 readsPerIterA=1 */
/* dataAtIterB=9 numReadsIterB=15 skipReadsIterB=5 readsPerIterB=1 */


/* iter 22 (last unrolled loop) */

/*  grEndMfmaIndex:0, lwStartMfmaIndex:25, lwEndMfmaIndex:25  */
/*  numMfmaForLR:0, barrierMfmaIndex:31 */
/*  mfmaIndex:22  */
/* localReadsVacancy: latencyLeft 1 */
s_waitcnt lgkmcnt(8)                               // lgkmcnt=0 vmcnt=-1wait for prior local read local write old=0, new=8 newLW=0 newLR=8
v_mfma_f32_4x4x4bf16_1k a[0+0:3+0], v[vgprValuA_X22_I0+0+0+0:vgprValuA_X22_I0+0+0+0+1], v[vgprValuB_X22_I0+0+0+0:vgprValuB_X22_I0+0+0+0+1], a[0:3]
/* numPrefetchIter=0 */
/* dataAtIterA=10 numReadsIterA=15 skipReadsIterA=4 readsPerIterA=1 */
/* dataAtIterB=10 numReadsIterB=15 skipReadsIterB=4 readsPerIterB=1 */


/* iter 23 (last unrolled loop) */

/*  grEndMfmaIndex:0, lwStartMfmaIndex:25, lwEndMfmaIndex:25  */
/*  numMfmaForLR:0, barrierMfmaIndex:31 */
/*  mfmaIndex:23  */
/* localReadsVacancy: latencyLeft 1 */
s_waitcnt lgkmcnt(8)                               // lgkmcnt=0 vmcnt=-1wait for prior local read local write old=0, new=8 newLW=0 newLR=8
v_mfma_f32_4x4x4bf16_1k a[0+0:3+0], v[vgprValuA_X22_I0+0+2+0:vgprValuA_X22_I0+0+2+0+1], v[vgprValuB_X22_I0+0+2+0:vgprValuB_X22_I0+0+2+0+1], a[0:3]
/* numPrefetchIter=0 */
/* dataAtIterA=10 numReadsIterA=15 skipReadsIterA=4 readsPerIterA=1 */
/* dataAtIterB=10 numReadsIterB=15 skipReadsIterB=4 readsPerIterB=1 */


/* iter 24 (last unrolled loop) */

/*  grEndMfmaIndex:0, lwStartMfmaIndex:25, lwEndMfmaIndex:25  */
/*  numMfmaForLR:0, barrierMfmaIndex:31 */
/*  mfmaIndex:24  */
/* localReadsVacancy: latencyLeft 1 */
/* 1 LDS buffer: read-sync-write */
s_waitcnt lgkmcnt(0)                               // 
s_barrier                                          // 
s_waitcnt lgkmcnt(6)                               // lgkmcnt=0 vmcnt=-1wait for prior local read local write old=0, new=6 newLW=0 newLR=6
v_mfma_f32_4x4x4bf16_1k a[0+0:3+0], v[vgprValuA_X24_I0+0+0+0:vgprValuA_X24_I0+0+0+0+1], v[vgprValuB_X24_I0+0+0+0:vgprValuB_X24_I0+0+0+0+1], a[0:3]
/* numPrefetchIter=0 */
/* dataAtIterA=11 numReadsIterA=15 skipReadsIterA=3 readsPerIterA=1 */
/* dataAtIterB=11 numReadsIterB=15 skipReadsIterB=3 readsPerIterB=1 */


/* iter 25 (last unrolled loop) */

/*  grEndMfmaIndex:0, lwStartMfmaIndex:25, lwEndMfmaIndex:25  */
/*  numMfmaForLR:0, barrierMfmaIndex:31 */
/*  mfmaIndex:25  */
/* localReadsVacancy: latencyLeft 1 */
s_waitcnt lgkmcnt(6)                               // lgkmcnt=0 vmcnt=-1wait for prior local read local write old=0, new=6 newLW=0 newLR=6
v_mfma_f32_4x4x4bf16_1k a[0+0:3+0], v[vgprValuA_X24_I0+0+2+0:vgprValuA_X24_I0+0+2+0+1], v[vgprValuB_X24_I0+0+2+0:vgprValuB_X24_I0+0+2+0+1], a[0:3]
/* numPrefetchIter=0 */
/* dataAtIterA=11 numReadsIterA=15 skipReadsIterA=3 readsPerIterA=1 */
/* dataAtIterB=11 numReadsIterB=15 skipReadsIterB=3 readsPerIterB=1 */


/* iter 26 (last unrolled loop) */

/*  grEndMfmaIndex:0, lwStartMfmaIndex:25, lwEndMfmaIndex:25  */
/*  numMfmaForLR:0, barrierMfmaIndex:31 */
/*  mfmaIndex:26  */
v_mfma_f32_4x4x4bf16_1k a[0+0:3+0], v[vgprValuA_X26_I0+0+0+0:vgprValuA_X26_I0+0+0+0+1], v[vgprValuB_X26_I0+0+0+0:vgprValuB_X26_I0+0+0+0+1], a[0:3]


/* iter 27 (last unrolled loop) */

/*  grEndMfmaIndex:0, lwStartMfmaIndex:25, lwEndMfmaIndex:25  */
/*  numMfmaForLR:0, barrierMfmaIndex:31 */
/*  mfmaIndex:27  */
v_mfma_f32_4x4x4bf16_1k a[0+0:3+0], v[vgprValuA_X26_I0+0+2+0:vgprValuA_X26_I0+0+2+0+1], v[vgprValuB_X26_I0+0+2+0:vgprValuB_X26_I0+0+2+0+1], a[0:3]


/* iter 28 (last unrolled loop) */

/*  grEndMfmaIndex:0, lwStartMfmaIndex:25, lwEndMfmaIndex:25  */
/*  numMfmaForLR:0, barrierMfmaIndex:31 */
/*  mfmaIndex:28  */
v_mfma_f32_4x4x4bf16_1k a[0+0:3+0], v[vgprValuA_X28_I0+0+0+0:vgprValuA_X28_I0+0+0+0+1], v[vgprValuB_X28_I0+0+0+0:vgprValuB_X28_I0+0+0+0+1], a[0:3]


/* iter 29 (last unrolled loop) */

/*  grEndMfmaIndex:0, lwStartMfmaIndex:25, lwEndMfmaIndex:25  */
/*  numMfmaForLR:0, barrierMfmaIndex:31 */
/*  mfmaIndex:29  */
v_mfma_f32_4x4x4bf16_1k a[0+0:3+0], v[vgprValuA_X28_I0+0+2+0:vgprValuA_X28_I0+0+2+0+1], v[vgprValuB_X28_I0+0+2+0:vgprValuB_X28_I0+0+2+0+1], a[0:3]


/* iter 30 (last unrolled loop) */

/*  grEndMfmaIndex:0, lwStartMfmaIndex:25, lwEndMfmaIndex:25  */
/*  numMfmaForLR:0, barrierMfmaIndex:31 */
/*  mfmaIndex:30  */
v_mfma_f32_4x4x4bf16_1k a[0+0:3+0], v[vgprValuA_X30_I0+0+0+0:vgprValuA_X30_I0+0+0+0+1], v[vgprValuB_X30_I0+0+0+0:vgprValuB_X30_I0+0+0+0+1], a[0:3]


/* iter 31 (last unrolled loop) */

/*  grEndMfmaIndex:0, lwStartMfmaIndex:25, lwEndMfmaIndex:25  */
/*  numMfmaForLR:0, barrierMfmaIndex:31 */
/*  mfmaIndex:31  */
v_mfma_f32_4x4x4bf16_1k a[0+0:3+0], v[vgprValuA_X30_I0+0+2+0:vgprValuA_X30_I0+0+2+0+1], v[vgprValuB_X30_I0+0+2+0:vgprValuB_X30_I0+0+2+0+1], a[0:3]

PrefetchGlobalLastIterEnd_5:


/******************************************/
/* Tail Loop                              */
/******************************************/


/* local write reset offsets a */


	;; [unrolled: 1-line block ×4, first 2 shown]
/* local write reset offsets b */


	;; [unrolled: 1-line block ×4, first 2 shown]
//numIterL = (((sizeL % LOCAL_DEPTHU) + LOCAL_SPLITU - 1) / LOCAL_SPLITU)
s_and_b32 s[sgprLoopCounterL], 127, s[sgprSizesSum+0] // s[sgprLoopCounterL] = s[sgprSizesSum+0] % 128
s_cmp_eq_u32 s[sgprLoopCounterL], 0x0              // numIterL == 0
s_cbranch_scc1 SkipTailLoopL_8                     // skip to end of tail loop b/c numIter==0
s_mov_b32 s[sgprOrigLoopCounter], 0                // repurpose to count each localRead increment


/* Update M0 for DTLDS */


	;; [unrolled: 1-line block ×3, first 2 shown]
/* global read a */

/* g2l=0, load component 0 */
_buffer_load_d16_b16 v[vgprG2LA+0+0], v[vgprGlobalReadOffsetA+0], s[sgprSrdA:sgprSrdA+3], 0, offen offset:0 // load one buffer value
/* g2l=0, load component 1 */
_buffer_load_d16_hi_b16 v201, v[vgprGlobalReadOffsetA+0], s[sgprSrdA:sgprSrdA+3], 0, offen offset:2 // load one buffer value
s_waitcnt vmcnt(0)
v_or_b32 v[vgprG2LA+0+0], v[vgprG2LA+0+0], v201 // HasEccHalf: pack
/* g2l=0, load component 2 */
_buffer_load_d16_b16 v[vgprG2LA+0+1], v[vgprGlobalReadOffsetA+0], s[sgprSrdA:sgprSrdA+3], 0, offen offset:4 // load one buffer value
/* g2l=0, load component 3 */
_buffer_load_d16_hi_b16 v201, v[vgprGlobalReadOffsetA+0], s[sgprSrdA:sgprSrdA+3], 0, offen offset:6 // load one buffer value
s_waitcnt vmcnt(0)
v_or_b32 v[vgprG2LA+0+1], v[vgprG2LA+0+1], v201 // HasEccHalf: pack
	;; [unrolled: 6-line block ×4, first 2 shown]
/* g2l=4, load component 0 */
_buffer_load_d16_b16 v[vgprG2LA+4+0], v[vgprGlobalReadOffsetA+0], s[sgprSrdA:sgprSrdA+3], s[sgprScalarGlobalReadOffsetA+0], offen offset:0 // load one buffer value
/* g2l=4, load component 1 */
_buffer_load_d16_hi_b16 v201, v[vgprGlobalReadOffsetA+0], s[sgprSrdA:sgprSrdA+3], s[sgprScalarGlobalReadOffsetA+0], offen offset:2 // load one buffer value
s_waitcnt vmcnt(0)
v_or_b32 v[vgprG2LA+4+0], v[vgprG2LA+4+0], v201 // HasEccHalf: pack
/* g2l=4, load component 2 */
_buffer_load_d16_b16 v[vgprG2LA+4+1], v[vgprGlobalReadOffsetA+0], s[sgprSrdA:sgprSrdA+3], s[sgprScalarGlobalReadOffsetA+0], offen offset:4 // load one buffer value
/* g2l=4, load component 3 */
_buffer_load_d16_hi_b16 v201, v[vgprGlobalReadOffsetA+0], s[sgprSrdA:sgprSrdA+3], s[sgprScalarGlobalReadOffsetA+0], offen offset:6 // load one buffer value
s_waitcnt vmcnt(0)
v_or_b32 v[vgprG2LA+4+1], v[vgprG2LA+4+1], v201 // HasEccHalf: pack
	;; [unrolled: 6-line block ×60, first 2 shown]


/* Update M0 for DTLDS */


	;; [unrolled: 1-line block ×3, first 2 shown]
/* global read b */

/* g2l=0, load component 0 */
_buffer_load_d16_b16 v[vgprG2LB+0+0], v[vgprGlobalReadOffsetB+0], s[sgprSrdB:sgprSrdB+3], 0, offen offset:0 // load one buffer value
/* g2l=0, load component 1 */
_buffer_load_d16_hi_b16 v201, v[vgprGlobalReadOffsetB+0], s[sgprSrdB:sgprSrdB+3], 0, offen offset:2 // load one buffer value
s_waitcnt vmcnt(0)
v_or_b32 v[vgprG2LB+0+0], v[vgprG2LB+0+0], v201 // HasEccHalf: pack
/* g2l=0, load component 2 */
_buffer_load_d16_b16 v[vgprG2LB+0+1], v[vgprGlobalReadOffsetB+0], s[sgprSrdB:sgprSrdB+3], 0, offen offset:4 // load one buffer value
/* g2l=0, load component 3 */
_buffer_load_d16_hi_b16 v201, v[vgprGlobalReadOffsetB+0], s[sgprSrdB:sgprSrdB+3], 0, offen offset:6 // load one buffer value
s_waitcnt vmcnt(0)
v_or_b32 v[vgprG2LB+0+1], v[vgprG2LB+0+1], v201 // HasEccHalf: pack

s_waitcnt vmcnt(0)                                 // lgkmcnt=-1 vmcnt=02wait for global read

s_waitcnt lgkmcnt(0) & vmcnt(0)                    // force waitcnt0
s_barrier //


/* Done global A/B reads */


	;; [unrolled: 1-line block ×4, first 2 shown]
/* local write a */

_ds_store_b128 v[vgprLocalWriteAddrA], v[vgprG2LA+0:vgprG2LA+0+3] offset:0 // lwoA_0_0_0_0 = (0*LSCA)*(MT0I+PAD) + (0*LSPA) = 0
_ds_store_b128 v[vgprLocalWriteAddrA], v[vgprG2LA+4:vgprG2LA+4+3] offset:2176 // lwoA_0_0_1_0 = (0*LSCA)*(MT0I+PAD) + (1*LSPA) = 2176
_ds_store_b128 v[vgprLocalWriteAddrA], v[vgprG2LA+8:vgprG2LA+8+3] offset:4352 // lwoA_0_0_2_0 = (0*LSCA)*(MT0I+PAD) + (2*LSPA) = 4352
_ds_store_b128 v[vgprLocalWriteAddrA], v[vgprG2LA+12:vgprG2LA+12+3] offset:6528 // lwoA_0_0_3_0 = (0*LSCA)*(MT0I+PAD) + (3*LSPA) = 6528
_ds_store_b128 v[vgprLocalWriteAddrA], v[vgprG2LA+16:vgprG2LA+16+3] offset:8704 // lwoA_0_0_4_0 = (0*LSCA)*(MT0I+PAD) + (4*LSPA) = 8704
_ds_store_b128 v[vgprLocalWriteAddrA], v[vgprG2LA+20:vgprG2LA+20+3] offset:10880 // lwoA_0_0_5_0 = (0*LSCA)*(MT0I+PAD) + (5*LSPA) = 10880
_ds_store_b128 v[vgprLocalWriteAddrA], v[vgprG2LA+24:vgprG2LA+24+3] offset:13056 // lwoA_0_0_6_0 = (0*LSCA)*(MT0I+PAD) + (6*LSPA) = 13056
_ds_store_b128 v[vgprLocalWriteAddrA], v[vgprG2LA+28:vgprG2LA+28+3] offset:15232 // lwoA_0_0_7_0 = (0*LSCA)*(MT0I+PAD) + (7*LSPA) = 15232
_ds_store_b128 v[vgprLocalWriteAddrA], v[vgprG2LA+32:vgprG2LA+32+3] offset:17408 // lwoA_0_0_8_0 = (0*LSCA)*(MT0I+PAD) + (8*LSPA) = 17408
_ds_store_b128 v[vgprLocalWriteAddrA], v[vgprG2LA+36:vgprG2LA+36+3] offset:19584 // lwoA_0_0_9_0 = (0*LSCA)*(MT0I+PAD) + (9*LSPA) = 19584
_ds_store_b128 v[vgprLocalWriteAddrA], v[vgprG2LA+40:vgprG2LA+40+3] offset:21760 // lwoA_0_0_10_0 = (0*LSCA)*(MT0I+PAD) + (10*LSPA) = 21760
_ds_store_b128 v[vgprLocalWriteAddrA], v[vgprG2LA+44:vgprG2LA+44+3] offset:23936 // lwoA_0_0_11_0 = (0*LSCA)*(MT0I+PAD) + (11*LSPA) = 23936
_ds_store_b128 v[vgprLocalWriteAddrA], v[vgprG2LA+48:vgprG2LA+48+3] offset:26112 // lwoA_0_0_12_0 = (0*LSCA)*(MT0I+PAD) + (12*LSPA) = 26112
_ds_store_b128 v[vgprLocalWriteAddrA], v[vgprG2LA+52:vgprG2LA+52+3] offset:28288 // lwoA_0_0_13_0 = (0*LSCA)*(MT0I+PAD) + (13*LSPA) = 28288
_ds_store_b128 v[vgprLocalWriteAddrA], v[vgprG2LA+56:vgprG2LA+56+3] offset:30464 // lwoA_0_0_14_0 = (0*LSCA)*(MT0I+PAD) + (14*LSPA) = 30464
_ds_store_b128 v[vgprLocalWriteAddrA], v[vgprG2LA+60:vgprG2LA+60+3] offset:32640 // lwoA_0_0_15_0 = (0*LSCA)*(MT0I+PAD) + (15*LSPA) = 32640


/* local write b */

_ds_store_b64 v[vgprLocalWriteAddrB], v[vgprG2LB+0:vgprG2LB+0+1] offset:0 // lwoB_0_0_0_0 = (0*LSCB)*(MT1J+PAD) + (0*LSPB) = 0


/* Recalc local read offsets */


s_waitcnt lgkmcnt(0)                               // lgkmcnt=0 vmcnt=-15wait for local write

s_waitcnt lgkmcnt(0) & vmcnt(0)                    // force waitcnt0
s_barrier //


/* local read reset offsets a */


	;; [unrolled: 1-line block ×3, first 2 shown]
/* local read reset offsets b */



/* local read init pointers a */


/* localReadInitPointers */


/* local read init pointers b */


/* localReadInitPointers */


/* tail loop: macs */

TailLoopBeginL_6:


/* tail loop unroll iter 0 */


/* local read a */

_ds_load_b64 v[vgprValuA_X0_I0+0:vgprValuA_X0_I0+0+1], v[vgprLocalReadAddrA] offset:0 // L -> Reg lro=0 swapByteOffset=0 ti=128 vIdx=0 rIdx=0 oIdx=0 buffer=0 iui=0


/* local read b */

_ds_load_b64 v[vgprValuB_X0_I0+0:vgprValuB_X0_I0+0+1], v[vgprLocalReadAddrB] offset:0 // L -> Reg lro=0 swapByteOffset=0 ti=4 vIdx=0 rIdx=0 oIdx=0 buffer=0 iui=0


/* local read inc a */

s_mov_b32 s31, 0x8                                 // inc
_v_add_co_u32 v[vgprLocalReadAddrA], vcc, s31, v[vgprLocalReadAddrA] // lrA += 8 (LSU*bpe)


/* local read inc b */

s_mov_b32 s31, 0x8                                 // inc
_v_add_co_u32 v[vgprLocalReadAddrB], vcc, s31, v[vgprLocalReadAddrB] // lrB += 8 (LSU*bpe)

s_waitcnt lgkmcnt(0)                               // lgkmcnt=0 vmcnt=-14wait for local read


	;; [unrolled: 1-line block ×3, first 2 shown]
/* tail loop mfma iter 0: numReadsIterCoalescedA=1, numReadsIterCoalescedB=1 */
v_and_b32 v201, 63, v[vgprSerial]                  // v201 = v[vgprSerial] % 64
v_lshrrev_b32 v201, 6, v201                        // v201 = v201 / 64
v_lshlrev_b32 v201, 0x2, v201                      // v201 = v201 * 4
v_cmp_ge_i32 s[32:33], v201, s[sgprLoopCounterL]   // check K index >= Size L
v_cndmask_b32 v[vgprValuA_X0_I0+0+0+0+0], v[vgprValuA_X0_I0+0+0+0+0], 0x0, s[32:33] // set 0 if K_idx >= sizeL
v_cndmask_b32 v[vgprValuB_X0_I0+0+0+0+0], v[vgprValuB_X0_I0+0+0+0+0], 0x0, s[32:33] // set 0 if K_idx >= sizeL
v_cndmask_b32 v[vgprValuA_X0_I0+0+0+0+1], v[vgprValuA_X0_I0+0+0+0+1], 0x0, s[32:33] // set 0 if K_idx >= sizeL
v_cndmask_b32 v[vgprValuB_X0_I0+0+0+0+1], v[vgprValuB_X0_I0+0+0+0+1], 0x0, s[32:33] // set 0 if K_idx >= sizeL
_v_sub_u32 v201, s[sgprLoopCounterL], v201         // get distance between size and k index
v_cmp_lt_i32 s[32:33], v201, 4                     // set partial 0 if distance less than input per thread
s_and_b32 s34, s[sgprLoopCounterL], 3              // get inputs for edge thread
s_sub_u32 s34, 4, s34                              // use shift to fill 0 for outside element
s_lshl_b32 s34, s34, 4                             // use shift to fill 0 for outside element
v_mov_b32 v202, -1                                 // set 0xffffffff
v_mov_b32 v203, -1                                 // set 0xffffffff
v_lshrrev_b64 v[202:203], s34, v[202:203]          // rshift mask for partial k
v_cndmask_b32 v202, -1, v202, s[32:33]             // select shifted mask for partial k
v_cndmask_b32 v203, -1, v203, s[32:33]             // select shifted mask for partial k
v_and_b32 v[vgprValuA_X0_I0+0+0+0+0], v[vgprValuA_X0_I0+0+0+0+0], v202 // 
v_and_b32 v[vgprValuA_X0_I0+0+0+0+1], v[vgprValuA_X0_I0+0+0+0+1], v203 // 
v_and_b32 v[vgprValuB_X0_I0+0+0+0+0], v[vgprValuB_X0_I0+0+0+0+0], v202 // 
v_and_b32 v[vgprValuB_X0_I0+0+0+0+1], v[vgprValuB_X0_I0+0+0+0+1], v203 // 
s_nop 1
v_mfma_f32_4x4x4bf16_1k a[0+0:3+0], v[vgprValuA_X0_I0+0+0+0:vgprValuA_X0_I0+0+0+0+1], v[vgprValuB_X0_I0+0+0+0:vgprValuB_X0_I0+0+0+0+1], a[0:3]


/* closeLoop loopL finalLoop=0 tailLoop=1 */
s_sub_i32 s[sgprLoopCounterL], s[sgprLoopCounterL], 0x4 // dec counterL (tailLoop)
s_add_u32 s[sgprOrigLoopCounter], s[sgprOrigLoopCounter], 0x4 // inc counterL
s_cmp_le_i32 s[sgprLoopCounterL], 0x0              // counterL<=0
s_cbranch_scc1 TailLoopEndL_7                      // exit LoopL


/* tail loop unroll iter 1 */


/* local read a */

_ds_load_b64 v[vgprValuA_X1_I0+0:vgprValuA_X1_I0+0+1], v[vgprLocalReadAddrA] offset:0 // L -> Reg lro=0 swapByteOffset=0 ti=128 vIdx=0 rIdx=0 oIdx=0 buffer=1 iui=0


/* local read b */

_ds_load_b64 v[vgprValuB_X1_I0+0:vgprValuB_X1_I0+0+1], v[vgprLocalReadAddrB] offset:0 // L -> Reg lro=0 swapByteOffset=0 ti=4 vIdx=0 rIdx=0 oIdx=0 buffer=1 iui=0


/* local read inc a */

s_mov_b32 s31, 0x8                                 // inc
_v_add_co_u32 v[vgprLocalReadAddrA], vcc, s31, v[vgprLocalReadAddrA] // lrA += 8 (LSU*bpe)


/* local read inc b */

s_mov_b32 s31, 0x8                                 // inc
_v_add_co_u32 v[vgprLocalReadAddrB], vcc, s31, v[vgprLocalReadAddrB] // lrB += 8 (LSU*bpe)

s_waitcnt lgkmcnt(0)                               // lgkmcnt=0 vmcnt=-14wait for local read


	;; [unrolled: 1-line block ×3, first 2 shown]
/* tail loop mfma iter 1: numReadsIterCoalescedA=1, numReadsIterCoalescedB=1 */
v_and_b32 v201, 63, v[vgprSerial]                  // v201 = v[vgprSerial] % 64
v_lshrrev_b32 v201, 6, v201                        // v201 = v201 / 64
v_lshlrev_b32 v201, 0x2, v201                      // v201 = v201 * 4
v_cmp_ge_i32 s[32:33], v201, s[sgprLoopCounterL]   // check K index >= Size L
v_cndmask_b32 v[vgprValuA_X1_I0+0+0+0+0], v[vgprValuA_X1_I0+0+0+0+0], 0x0, s[32:33] // set 0 if K_idx >= sizeL
v_cndmask_b32 v[vgprValuB_X1_I0+0+0+0+0], v[vgprValuB_X1_I0+0+0+0+0], 0x0, s[32:33] // set 0 if K_idx >= sizeL
v_cndmask_b32 v[vgprValuA_X1_I0+0+0+0+1], v[vgprValuA_X1_I0+0+0+0+1], 0x0, s[32:33] // set 0 if K_idx >= sizeL
v_cndmask_b32 v[vgprValuB_X1_I0+0+0+0+1], v[vgprValuB_X1_I0+0+0+0+1], 0x0, s[32:33] // set 0 if K_idx >= sizeL
_v_sub_u32 v201, s[sgprLoopCounterL], v201         // get distance between size and k index
v_cmp_lt_i32 s[32:33], v201, 4                     // set partial 0 if distance less than input per thread
s_and_b32 s34, s[sgprLoopCounterL], 3              // get inputs for edge thread
s_sub_u32 s34, 4, s34                              // use shift to fill 0 for outside element
s_lshl_b32 s34, s34, 4                             // use shift to fill 0 for outside element
v_mov_b32 v202, -1                                 // set 0xffffffff
v_mov_b32 v203, -1                                 // set 0xffffffff
v_lshrrev_b64 v[202:203], s34, v[202:203]          // rshift mask for partial k
v_cndmask_b32 v202, -1, v202, s[32:33]             // select shifted mask for partial k
v_cndmask_b32 v203, -1, v203, s[32:33]             // select shifted mask for partial k
v_and_b32 v[vgprValuA_X1_I0+0+0+0+0], v[vgprValuA_X1_I0+0+0+0+0], v202 // 
v_and_b32 v[vgprValuA_X1_I0+0+0+0+1], v[vgprValuA_X1_I0+0+0+0+1], v203 // 
v_and_b32 v[vgprValuB_X1_I0+0+0+0+0], v[vgprValuB_X1_I0+0+0+0+0], v202 // 
v_and_b32 v[vgprValuB_X1_I0+0+0+0+1], v[vgprValuB_X1_I0+0+0+0+1], v203 // 
s_nop 1
v_mfma_f32_4x4x4bf16_1k a[0+0:3+0], v[vgprValuA_X1_I0+0+0+0:vgprValuA_X1_I0+0+0+0+1], v[vgprValuB_X1_I0+0+0+0:vgprValuB_X1_I0+0+0+0+1], a[0:3]


/* closeLoop loopL finalLoop=0 tailLoop=1 */
s_sub_i32 s[sgprLoopCounterL], s[sgprLoopCounterL], 0x4 // dec counterL (tailLoop)
s_add_u32 s[sgprOrigLoopCounter], s[sgprOrigLoopCounter], 0x4 // inc counterL
s_cmp_le_i32 s[sgprLoopCounterL], 0x0              // counterL<=0
s_cbranch_scc1 TailLoopEndL_7                      // exit LoopL


/* tail loop unroll iter 2 */


/* local read a */

_ds_load_b64 v[vgprValuA_X2_I0+0:vgprValuA_X2_I0+0+1], v[vgprLocalReadAddrA] offset:0 // L -> Reg lro=0 swapByteOffset=0 ti=128 vIdx=0 rIdx=0 oIdx=0 buffer=2 iui=0


/* local read b */

_ds_load_b64 v[vgprValuB_X2_I0+0:vgprValuB_X2_I0+0+1], v[vgprLocalReadAddrB] offset:0 // L -> Reg lro=0 swapByteOffset=0 ti=4 vIdx=0 rIdx=0 oIdx=0 buffer=2 iui=0


/* local read inc a */

s_mov_b32 s31, 0x8                                 // inc
_v_add_co_u32 v[vgprLocalReadAddrA], vcc, s31, v[vgprLocalReadAddrA] // lrA += 8 (LSU*bpe)


/* local read inc b */

s_mov_b32 s31, 0x8                                 // inc
_v_add_co_u32 v[vgprLocalReadAddrB], vcc, s31, v[vgprLocalReadAddrB] // lrB += 8 (LSU*bpe)

s_waitcnt lgkmcnt(0)                               // lgkmcnt=0 vmcnt=-14wait for local read


	;; [unrolled: 1-line block ×3, first 2 shown]
/* tail loop mfma iter 2: numReadsIterCoalescedA=1, numReadsIterCoalescedB=1 */
v_and_b32 v201, 63, v[vgprSerial]                  // v201 = v[vgprSerial] % 64
v_lshrrev_b32 v201, 6, v201                        // v201 = v201 / 64
v_lshlrev_b32 v201, 0x2, v201                      // v201 = v201 * 4
v_cmp_ge_i32 s[32:33], v201, s[sgprLoopCounterL]   // check K index >= Size L
v_cndmask_b32 v[vgprValuA_X2_I0+0+0+0+0], v[vgprValuA_X2_I0+0+0+0+0], 0x0, s[32:33] // set 0 if K_idx >= sizeL
v_cndmask_b32 v[vgprValuB_X2_I0+0+0+0+0], v[vgprValuB_X2_I0+0+0+0+0], 0x0, s[32:33] // set 0 if K_idx >= sizeL
v_cndmask_b32 v[vgprValuA_X2_I0+0+0+0+1], v[vgprValuA_X2_I0+0+0+0+1], 0x0, s[32:33] // set 0 if K_idx >= sizeL
v_cndmask_b32 v[vgprValuB_X2_I0+0+0+0+1], v[vgprValuB_X2_I0+0+0+0+1], 0x0, s[32:33] // set 0 if K_idx >= sizeL
_v_sub_u32 v201, s[sgprLoopCounterL], v201         // get distance between size and k index
v_cmp_lt_i32 s[32:33], v201, 4                     // set partial 0 if distance less than input per thread
s_and_b32 s34, s[sgprLoopCounterL], 3              // get inputs for edge thread
s_sub_u32 s34, 4, s34                              // use shift to fill 0 for outside element
s_lshl_b32 s34, s34, 4                             // use shift to fill 0 for outside element
v_mov_b32 v202, -1                                 // set 0xffffffff
v_mov_b32 v203, -1                                 // set 0xffffffff
v_lshrrev_b64 v[202:203], s34, v[202:203]          // rshift mask for partial k
v_cndmask_b32 v202, -1, v202, s[32:33]             // select shifted mask for partial k
v_cndmask_b32 v203, -1, v203, s[32:33]             // select shifted mask for partial k
v_and_b32 v[vgprValuA_X2_I0+0+0+0+0], v[vgprValuA_X2_I0+0+0+0+0], v202 // 
v_and_b32 v[vgprValuA_X2_I0+0+0+0+1], v[vgprValuA_X2_I0+0+0+0+1], v203 // 
v_and_b32 v[vgprValuB_X2_I0+0+0+0+0], v[vgprValuB_X2_I0+0+0+0+0], v202 // 
v_and_b32 v[vgprValuB_X2_I0+0+0+0+1], v[vgprValuB_X2_I0+0+0+0+1], v203 // 
s_nop 1
v_mfma_f32_4x4x4bf16_1k a[0+0:3+0], v[vgprValuA_X2_I0+0+0+0:vgprValuA_X2_I0+0+0+0+1], v[vgprValuB_X2_I0+0+0+0:vgprValuB_X2_I0+0+0+0+1], a[0:3]


/* closeLoop loopL finalLoop=0 tailLoop=1 */
s_sub_i32 s[sgprLoopCounterL], s[sgprLoopCounterL], 0x4 // dec counterL (tailLoop)
s_add_u32 s[sgprOrigLoopCounter], s[sgprOrigLoopCounter], 0x4 // inc counterL
s_cmp_le_i32 s[sgprLoopCounterL], 0x0              // counterL<=0
s_cbranch_scc1 TailLoopEndL_7                      // exit LoopL


/* tail loop unroll iter 3 */


/* local read a */

_ds_load_b64 v[vgprValuA_X3_I0+0:vgprValuA_X3_I0+0+1], v[vgprLocalReadAddrA] offset:0 // L -> Reg lro=0 swapByteOffset=0 ti=128 vIdx=0 rIdx=0 oIdx=0 buffer=3 iui=0


/* local read b */

_ds_load_b64 v[vgprValuB_X3_I0+0:vgprValuB_X3_I0+0+1], v[vgprLocalReadAddrB] offset:0 // L -> Reg lro=0 swapByteOffset=0 ti=4 vIdx=0 rIdx=0 oIdx=0 buffer=3 iui=0


/* local read inc a */

s_mov_b32 s31, 0x8                                 // inc
_v_add_co_u32 v[vgprLocalReadAddrA], vcc, s31, v[vgprLocalReadAddrA] // lrA += 8 (LSU*bpe)


/* local read inc b */

s_mov_b32 s31, 0x8                                 // inc
_v_add_co_u32 v[vgprLocalReadAddrB], vcc, s31, v[vgprLocalReadAddrB] // lrB += 8 (LSU*bpe)

s_waitcnt lgkmcnt(0)                               // lgkmcnt=0 vmcnt=-14wait for local read


	;; [unrolled: 1-line block ×3, first 2 shown]
/* tail loop mfma iter 3: numReadsIterCoalescedA=1, numReadsIterCoalescedB=1 */
v_and_b32 v201, 63, v[vgprSerial]                  // v201 = v[vgprSerial] % 64
v_lshrrev_b32 v201, 6, v201                        // v201 = v201 / 64
v_lshlrev_b32 v201, 0x2, v201                      // v201 = v201 * 4
v_cmp_ge_i32 s[32:33], v201, s[sgprLoopCounterL]   // check K index >= Size L
v_cndmask_b32 v[vgprValuA_X3_I0+0+0+0+0], v[vgprValuA_X3_I0+0+0+0+0], 0x0, s[32:33] // set 0 if K_idx >= sizeL
v_cndmask_b32 v[vgprValuB_X3_I0+0+0+0+0], v[vgprValuB_X3_I0+0+0+0+0], 0x0, s[32:33] // set 0 if K_idx >= sizeL
v_cndmask_b32 v[vgprValuA_X3_I0+0+0+0+1], v[vgprValuA_X3_I0+0+0+0+1], 0x0, s[32:33] // set 0 if K_idx >= sizeL
v_cndmask_b32 v[vgprValuB_X3_I0+0+0+0+1], v[vgprValuB_X3_I0+0+0+0+1], 0x0, s[32:33] // set 0 if K_idx >= sizeL
_v_sub_u32 v201, s[sgprLoopCounterL], v201         // get distance between size and k index
v_cmp_lt_i32 s[32:33], v201, 4                     // set partial 0 if distance less than input per thread
s_and_b32 s34, s[sgprLoopCounterL], 3              // get inputs for edge thread
s_sub_u32 s34, 4, s34                              // use shift to fill 0 for outside element
s_lshl_b32 s34, s34, 4                             // use shift to fill 0 for outside element
v_mov_b32 v202, -1                                 // set 0xffffffff
v_mov_b32 v203, -1                                 // set 0xffffffff
v_lshrrev_b64 v[202:203], s34, v[202:203]          // rshift mask for partial k
v_cndmask_b32 v202, -1, v202, s[32:33]             // select shifted mask for partial k
v_cndmask_b32 v203, -1, v203, s[32:33]             // select shifted mask for partial k
v_and_b32 v[vgprValuA_X3_I0+0+0+0+0], v[vgprValuA_X3_I0+0+0+0+0], v202 // 
v_and_b32 v[vgprValuA_X3_I0+0+0+0+1], v[vgprValuA_X3_I0+0+0+0+1], v203 // 
v_and_b32 v[vgprValuB_X3_I0+0+0+0+0], v[vgprValuB_X3_I0+0+0+0+0], v202 // 
v_and_b32 v[vgprValuB_X3_I0+0+0+0+1], v[vgprValuB_X3_I0+0+0+0+1], v203 // 
s_nop 1
v_mfma_f32_4x4x4bf16_1k a[0+0:3+0], v[vgprValuA_X3_I0+0+0+0:vgprValuA_X3_I0+0+0+0+1], v[vgprValuB_X3_I0+0+0+0:vgprValuB_X3_I0+0+0+0+1], a[0:3]


/* closeLoop loopL finalLoop=0 tailLoop=1 */
s_sub_i32 s[sgprLoopCounterL], s[sgprLoopCounterL], 0x4 // dec counterL (tailLoop)
s_add_u32 s[sgprOrigLoopCounter], s[sgprOrigLoopCounter], 0x4 // inc counterL
s_cmp_le_i32 s[sgprLoopCounterL], 0x0              // counterL<=0
s_cbranch_scc1 TailLoopEndL_7                      // exit LoopL


/* tail loop unroll iter 4 */


/* local read a */

_ds_load_b64 v[vgprValuA_X4_I0+0:vgprValuA_X4_I0+0+1], v[vgprLocalReadAddrA] offset:0 // L -> Reg lro=0 swapByteOffset=0 ti=128 vIdx=0 rIdx=0 oIdx=0 buffer=4 iui=0


/* local read b */

_ds_load_b64 v[vgprValuB_X4_I0+0:vgprValuB_X4_I0+0+1], v[vgprLocalReadAddrB] offset:0 // L -> Reg lro=0 swapByteOffset=0 ti=4 vIdx=0 rIdx=0 oIdx=0 buffer=4 iui=0


/* local read inc a */

s_mov_b32 s31, 0x8                                 // inc
_v_add_co_u32 v[vgprLocalReadAddrA], vcc, s31, v[vgprLocalReadAddrA] // lrA += 8 (LSU*bpe)


/* local read inc b */

s_mov_b32 s31, 0x8                                 // inc
_v_add_co_u32 v[vgprLocalReadAddrB], vcc, s31, v[vgprLocalReadAddrB] // lrB += 8 (LSU*bpe)

s_waitcnt lgkmcnt(0)                               // lgkmcnt=0 vmcnt=-14wait for local read


	;; [unrolled: 1-line block ×3, first 2 shown]
/* tail loop mfma iter 4: numReadsIterCoalescedA=1, numReadsIterCoalescedB=1 */
v_and_b32 v201, 63, v[vgprSerial]                  // v201 = v[vgprSerial] % 64
v_lshrrev_b32 v201, 6, v201                        // v201 = v201 / 64
v_lshlrev_b32 v201, 0x2, v201                      // v201 = v201 * 4
v_cmp_ge_i32 s[32:33], v201, s[sgprLoopCounterL]   // check K index >= Size L
v_cndmask_b32 v[vgprValuA_X4_I0+0+0+0+0], v[vgprValuA_X4_I0+0+0+0+0], 0x0, s[32:33] // set 0 if K_idx >= sizeL
v_cndmask_b32 v[vgprValuB_X4_I0+0+0+0+0], v[vgprValuB_X4_I0+0+0+0+0], 0x0, s[32:33] // set 0 if K_idx >= sizeL
v_cndmask_b32 v[vgprValuA_X4_I0+0+0+0+1], v[vgprValuA_X4_I0+0+0+0+1], 0x0, s[32:33] // set 0 if K_idx >= sizeL
v_cndmask_b32 v[vgprValuB_X4_I0+0+0+0+1], v[vgprValuB_X4_I0+0+0+0+1], 0x0, s[32:33] // set 0 if K_idx >= sizeL
_v_sub_u32 v201, s[sgprLoopCounterL], v201         // get distance between size and k index
v_cmp_lt_i32 s[32:33], v201, 4                     // set partial 0 if distance less than input per thread
s_and_b32 s34, s[sgprLoopCounterL], 3              // get inputs for edge thread
s_sub_u32 s34, 4, s34                              // use shift to fill 0 for outside element
s_lshl_b32 s34, s34, 4                             // use shift to fill 0 for outside element
v_mov_b32 v202, -1                                 // set 0xffffffff
v_mov_b32 v203, -1                                 // set 0xffffffff
v_lshrrev_b64 v[202:203], s34, v[202:203]          // rshift mask for partial k
v_cndmask_b32 v202, -1, v202, s[32:33]             // select shifted mask for partial k
v_cndmask_b32 v203, -1, v203, s[32:33]             // select shifted mask for partial k
v_and_b32 v[vgprValuA_X4_I0+0+0+0+0], v[vgprValuA_X4_I0+0+0+0+0], v202 // 
v_and_b32 v[vgprValuA_X4_I0+0+0+0+1], v[vgprValuA_X4_I0+0+0+0+1], v203 // 
v_and_b32 v[vgprValuB_X4_I0+0+0+0+0], v[vgprValuB_X4_I0+0+0+0+0], v202 // 
v_and_b32 v[vgprValuB_X4_I0+0+0+0+1], v[vgprValuB_X4_I0+0+0+0+1], v203 // 
s_nop 1
v_mfma_f32_4x4x4bf16_1k a[0+0:3+0], v[vgprValuA_X4_I0+0+0+0:vgprValuA_X4_I0+0+0+0+1], v[vgprValuB_X4_I0+0+0+0:vgprValuB_X4_I0+0+0+0+1], a[0:3]


/* closeLoop loopL finalLoop=0 tailLoop=1 */
s_sub_i32 s[sgprLoopCounterL], s[sgprLoopCounterL], 0x4 // dec counterL (tailLoop)
s_add_u32 s[sgprOrigLoopCounter], s[sgprOrigLoopCounter], 0x4 // inc counterL
s_cmp_le_i32 s[sgprLoopCounterL], 0x0              // counterL<=0
s_cbranch_scc1 TailLoopEndL_7                      // exit LoopL


/* tail loop unroll iter 5 */


/* local read a */

_ds_load_b64 v[vgprValuA_X5_I0+0:vgprValuA_X5_I0+0+1], v[vgprLocalReadAddrA] offset:0 // L -> Reg lro=0 swapByteOffset=0 ti=128 vIdx=0 rIdx=0 oIdx=0 buffer=5 iui=0


/* local read b */

_ds_load_b64 v[vgprValuB_X5_I0+0:vgprValuB_X5_I0+0+1], v[vgprLocalReadAddrB] offset:0 // L -> Reg lro=0 swapByteOffset=0 ti=4 vIdx=0 rIdx=0 oIdx=0 buffer=5 iui=0


/* local read inc a */

s_mov_b32 s31, 0x8                                 // inc
_v_add_co_u32 v[vgprLocalReadAddrA], vcc, s31, v[vgprLocalReadAddrA] // lrA += 8 (LSU*bpe)


/* local read inc b */

s_mov_b32 s31, 0x8                                 // inc
_v_add_co_u32 v[vgprLocalReadAddrB], vcc, s31, v[vgprLocalReadAddrB] // lrB += 8 (LSU*bpe)

s_waitcnt lgkmcnt(0)                               // lgkmcnt=0 vmcnt=-14wait for local read


	;; [unrolled: 1-line block ×3, first 2 shown]
/* tail loop mfma iter 5: numReadsIterCoalescedA=1, numReadsIterCoalescedB=1 */
v_and_b32 v201, 63, v[vgprSerial]                  // v201 = v[vgprSerial] % 64
v_lshrrev_b32 v201, 6, v201                        // v201 = v201 / 64
v_lshlrev_b32 v201, 0x2, v201                      // v201 = v201 * 4
v_cmp_ge_i32 s[32:33], v201, s[sgprLoopCounterL]   // check K index >= Size L
v_cndmask_b32 v[vgprValuA_X5_I0+0+0+0+0], v[vgprValuA_X5_I0+0+0+0+0], 0x0, s[32:33] // set 0 if K_idx >= sizeL
v_cndmask_b32 v[vgprValuB_X5_I0+0+0+0+0], v[vgprValuB_X5_I0+0+0+0+0], 0x0, s[32:33] // set 0 if K_idx >= sizeL
v_cndmask_b32 v[vgprValuA_X5_I0+0+0+0+1], v[vgprValuA_X5_I0+0+0+0+1], 0x0, s[32:33] // set 0 if K_idx >= sizeL
v_cndmask_b32 v[vgprValuB_X5_I0+0+0+0+1], v[vgprValuB_X5_I0+0+0+0+1], 0x0, s[32:33] // set 0 if K_idx >= sizeL
_v_sub_u32 v201, s[sgprLoopCounterL], v201         // get distance between size and k index
v_cmp_lt_i32 s[32:33], v201, 4                     // set partial 0 if distance less than input per thread
s_and_b32 s34, s[sgprLoopCounterL], 3              // get inputs for edge thread
s_sub_u32 s34, 4, s34                              // use shift to fill 0 for outside element
s_lshl_b32 s34, s34, 4                             // use shift to fill 0 for outside element
v_mov_b32 v202, -1                                 // set 0xffffffff
v_mov_b32 v203, -1                                 // set 0xffffffff
v_lshrrev_b64 v[202:203], s34, v[202:203]          // rshift mask for partial k
v_cndmask_b32 v202, -1, v202, s[32:33]             // select shifted mask for partial k
v_cndmask_b32 v203, -1, v203, s[32:33]             // select shifted mask for partial k
v_and_b32 v[vgprValuA_X5_I0+0+0+0+0], v[vgprValuA_X5_I0+0+0+0+0], v202 // 
v_and_b32 v[vgprValuA_X5_I0+0+0+0+1], v[vgprValuA_X5_I0+0+0+0+1], v203 // 
v_and_b32 v[vgprValuB_X5_I0+0+0+0+0], v[vgprValuB_X5_I0+0+0+0+0], v202 // 
v_and_b32 v[vgprValuB_X5_I0+0+0+0+1], v[vgprValuB_X5_I0+0+0+0+1], v203 // 
s_nop 1
v_mfma_f32_4x4x4bf16_1k a[0+0:3+0], v[vgprValuA_X5_I0+0+0+0:vgprValuA_X5_I0+0+0+0+1], v[vgprValuB_X5_I0+0+0+0:vgprValuB_X5_I0+0+0+0+1], a[0:3]


/* closeLoop loopL finalLoop=0 tailLoop=1 */
s_sub_i32 s[sgprLoopCounterL], s[sgprLoopCounterL], 0x4 // dec counterL (tailLoop)
s_add_u32 s[sgprOrigLoopCounter], s[sgprOrigLoopCounter], 0x4 // inc counterL
s_cmp_le_i32 s[sgprLoopCounterL], 0x0              // counterL<=0
s_cbranch_scc1 TailLoopEndL_7                      // exit LoopL


/* tail loop unroll iter 6 */


/* local read a */

_ds_load_b64 v[vgprValuA_X6_I0+0:vgprValuA_X6_I0+0+1], v[vgprLocalReadAddrA] offset:0 // L -> Reg lro=0 swapByteOffset=0 ti=128 vIdx=0 rIdx=0 oIdx=0 buffer=6 iui=0


/* local read b */

_ds_load_b64 v[vgprValuB_X6_I0+0:vgprValuB_X6_I0+0+1], v[vgprLocalReadAddrB] offset:0 // L -> Reg lro=0 swapByteOffset=0 ti=4 vIdx=0 rIdx=0 oIdx=0 buffer=6 iui=0


/* local read inc a */

s_mov_b32 s31, 0x8                                 // inc
_v_add_co_u32 v[vgprLocalReadAddrA], vcc, s31, v[vgprLocalReadAddrA] // lrA += 8 (LSU*bpe)


/* local read inc b */

s_mov_b32 s31, 0x8                                 // inc
_v_add_co_u32 v[vgprLocalReadAddrB], vcc, s31, v[vgprLocalReadAddrB] // lrB += 8 (LSU*bpe)

s_waitcnt lgkmcnt(0)                               // lgkmcnt=0 vmcnt=-14wait for local read


	;; [unrolled: 1-line block ×3, first 2 shown]
/* tail loop mfma iter 6: numReadsIterCoalescedA=1, numReadsIterCoalescedB=1 */
v_and_b32 v201, 63, v[vgprSerial]                  // v201 = v[vgprSerial] % 64
v_lshrrev_b32 v201, 6, v201                        // v201 = v201 / 64
v_lshlrev_b32 v201, 0x2, v201                      // v201 = v201 * 4
v_cmp_ge_i32 s[32:33], v201, s[sgprLoopCounterL]   // check K index >= Size L
v_cndmask_b32 v[vgprValuA_X6_I0+0+0+0+0], v[vgprValuA_X6_I0+0+0+0+0], 0x0, s[32:33] // set 0 if K_idx >= sizeL
v_cndmask_b32 v[vgprValuB_X6_I0+0+0+0+0], v[vgprValuB_X6_I0+0+0+0+0], 0x0, s[32:33] // set 0 if K_idx >= sizeL
v_cndmask_b32 v[vgprValuA_X6_I0+0+0+0+1], v[vgprValuA_X6_I0+0+0+0+1], 0x0, s[32:33] // set 0 if K_idx >= sizeL
v_cndmask_b32 v[vgprValuB_X6_I0+0+0+0+1], v[vgprValuB_X6_I0+0+0+0+1], 0x0, s[32:33] // set 0 if K_idx >= sizeL
_v_sub_u32 v201, s[sgprLoopCounterL], v201         // get distance between size and k index
v_cmp_lt_i32 s[32:33], v201, 4                     // set partial 0 if distance less than input per thread
s_and_b32 s34, s[sgprLoopCounterL], 3              // get inputs for edge thread
s_sub_u32 s34, 4, s34                              // use shift to fill 0 for outside element
s_lshl_b32 s34, s34, 4                             // use shift to fill 0 for outside element
v_mov_b32 v202, -1                                 // set 0xffffffff
v_mov_b32 v203, -1                                 // set 0xffffffff
v_lshrrev_b64 v[202:203], s34, v[202:203]          // rshift mask for partial k
v_cndmask_b32 v202, -1, v202, s[32:33]             // select shifted mask for partial k
v_cndmask_b32 v203, -1, v203, s[32:33]             // select shifted mask for partial k
v_and_b32 v[vgprValuA_X6_I0+0+0+0+0], v[vgprValuA_X6_I0+0+0+0+0], v202 // 
v_and_b32 v[vgprValuA_X6_I0+0+0+0+1], v[vgprValuA_X6_I0+0+0+0+1], v203 // 
v_and_b32 v[vgprValuB_X6_I0+0+0+0+0], v[vgprValuB_X6_I0+0+0+0+0], v202 // 
v_and_b32 v[vgprValuB_X6_I0+0+0+0+1], v[vgprValuB_X6_I0+0+0+0+1], v203 // 
s_nop 1
v_mfma_f32_4x4x4bf16_1k a[0+0:3+0], v[vgprValuA_X6_I0+0+0+0:vgprValuA_X6_I0+0+0+0+1], v[vgprValuB_X6_I0+0+0+0:vgprValuB_X6_I0+0+0+0+1], a[0:3]


/* closeLoop loopL finalLoop=0 tailLoop=1 */
s_sub_i32 s[sgprLoopCounterL], s[sgprLoopCounterL], 0x4 // dec counterL (tailLoop)
s_add_u32 s[sgprOrigLoopCounter], s[sgprOrigLoopCounter], 0x4 // inc counterL
s_cmp_le_i32 s[sgprLoopCounterL], 0x0              // counterL<=0
s_cbranch_scc1 TailLoopEndL_7                      // exit LoopL


/* tail loop unroll iter 7 */


/* local read a */

_ds_load_b64 v[vgprValuA_X7_I0+0:vgprValuA_X7_I0+0+1], v[vgprLocalReadAddrA] offset:0 // L -> Reg lro=0 swapByteOffset=0 ti=128 vIdx=0 rIdx=0 oIdx=0 buffer=7 iui=0


/* local read b */

_ds_load_b64 v[vgprValuB_X7_I0+0:vgprValuB_X7_I0+0+1], v[vgprLocalReadAddrB] offset:0 // L -> Reg lro=0 swapByteOffset=0 ti=4 vIdx=0 rIdx=0 oIdx=0 buffer=7 iui=0


/* local read inc a */

s_mov_b32 s31, 0x8                                 // inc
_v_add_co_u32 v[vgprLocalReadAddrA], vcc, s31, v[vgprLocalReadAddrA] // lrA += 8 (LSU*bpe)


/* local read inc b */

s_mov_b32 s31, 0x8                                 // inc
_v_add_co_u32 v[vgprLocalReadAddrB], vcc, s31, v[vgprLocalReadAddrB] // lrB += 8 (LSU*bpe)

s_waitcnt lgkmcnt(0)                               // lgkmcnt=0 vmcnt=-14wait for local read


	;; [unrolled: 1-line block ×3, first 2 shown]
/* tail loop mfma iter 7: numReadsIterCoalescedA=1, numReadsIterCoalescedB=1 */
v_and_b32 v201, 63, v[vgprSerial]                  // v201 = v[vgprSerial] % 64
v_lshrrev_b32 v201, 6, v201                        // v201 = v201 / 64
v_lshlrev_b32 v201, 0x2, v201                      // v201 = v201 * 4
v_cmp_ge_i32 s[32:33], v201, s[sgprLoopCounterL]   // check K index >= Size L
v_cndmask_b32 v[vgprValuA_X7_I0+0+0+0+0], v[vgprValuA_X7_I0+0+0+0+0], 0x0, s[32:33] // set 0 if K_idx >= sizeL
v_cndmask_b32 v[vgprValuB_X7_I0+0+0+0+0], v[vgprValuB_X7_I0+0+0+0+0], 0x0, s[32:33] // set 0 if K_idx >= sizeL
v_cndmask_b32 v[vgprValuA_X7_I0+0+0+0+1], v[vgprValuA_X7_I0+0+0+0+1], 0x0, s[32:33] // set 0 if K_idx >= sizeL
v_cndmask_b32 v[vgprValuB_X7_I0+0+0+0+1], v[vgprValuB_X7_I0+0+0+0+1], 0x0, s[32:33] // set 0 if K_idx >= sizeL
_v_sub_u32 v201, s[sgprLoopCounterL], v201         // get distance between size and k index
v_cmp_lt_i32 s[32:33], v201, 4                     // set partial 0 if distance less than input per thread
s_and_b32 s34, s[sgprLoopCounterL], 3              // get inputs for edge thread
s_sub_u32 s34, 4, s34                              // use shift to fill 0 for outside element
s_lshl_b32 s34, s34, 4                             // use shift to fill 0 for outside element
v_mov_b32 v202, -1                                 // set 0xffffffff
v_mov_b32 v203, -1                                 // set 0xffffffff
v_lshrrev_b64 v[202:203], s34, v[202:203]          // rshift mask for partial k
v_cndmask_b32 v202, -1, v202, s[32:33]             // select shifted mask for partial k
v_cndmask_b32 v203, -1, v203, s[32:33]             // select shifted mask for partial k
v_and_b32 v[vgprValuA_X7_I0+0+0+0+0], v[vgprValuA_X7_I0+0+0+0+0], v202 // 
v_and_b32 v[vgprValuA_X7_I0+0+0+0+1], v[vgprValuA_X7_I0+0+0+0+1], v203 // 
v_and_b32 v[vgprValuB_X7_I0+0+0+0+0], v[vgprValuB_X7_I0+0+0+0+0], v202 // 
v_and_b32 v[vgprValuB_X7_I0+0+0+0+1], v[vgprValuB_X7_I0+0+0+0+1], v203 // 
s_nop 1
v_mfma_f32_4x4x4bf16_1k a[0+0:3+0], v[vgprValuA_X7_I0+0+0+0:vgprValuA_X7_I0+0+0+0+1], v[vgprValuB_X7_I0+0+0+0:vgprValuB_X7_I0+0+0+0+1], a[0:3]


/* closeLoop loopL finalLoop=0 tailLoop=1 */
s_sub_i32 s[sgprLoopCounterL], s[sgprLoopCounterL], 0x4 // dec counterL (tailLoop)
s_add_u32 s[sgprOrigLoopCounter], s[sgprOrigLoopCounter], 0x4 // inc counterL
s_cmp_le_i32 s[sgprLoopCounterL], 0x0              // counterL<=0
s_cbranch_scc1 TailLoopEndL_7                      // exit LoopL


/* tail loop unroll iter 8 */


/* local read a */

_ds_load_b64 v[vgprValuA_X8_I0+0:vgprValuA_X8_I0+0+1], v[vgprLocalReadAddrA] offset:0 // L -> Reg lro=0 swapByteOffset=0 ti=128 vIdx=0 rIdx=0 oIdx=0 buffer=8 iui=0


/* local read b */

_ds_load_b64 v[vgprValuB_X8_I0+0:vgprValuB_X8_I0+0+1], v[vgprLocalReadAddrB] offset:0 // L -> Reg lro=0 swapByteOffset=0 ti=4 vIdx=0 rIdx=0 oIdx=0 buffer=8 iui=0


/* local read inc a */

s_mov_b32 s31, 0x8                                 // inc
_v_add_co_u32 v[vgprLocalReadAddrA], vcc, s31, v[vgprLocalReadAddrA] // lrA += 8 (LSU*bpe)


/* local read inc b */

s_mov_b32 s31, 0x8                                 // inc
_v_add_co_u32 v[vgprLocalReadAddrB], vcc, s31, v[vgprLocalReadAddrB] // lrB += 8 (LSU*bpe)

s_waitcnt lgkmcnt(0)                               // lgkmcnt=0 vmcnt=-14wait for local read


	;; [unrolled: 1-line block ×3, first 2 shown]
/* tail loop mfma iter 8: numReadsIterCoalescedA=1, numReadsIterCoalescedB=1 */
v_and_b32 v201, 63, v[vgprSerial]                  // v201 = v[vgprSerial] % 64
v_lshrrev_b32 v201, 6, v201                        // v201 = v201 / 64
v_lshlrev_b32 v201, 0x2, v201                      // v201 = v201 * 4
v_cmp_ge_i32 s[32:33], v201, s[sgprLoopCounterL]   // check K index >= Size L
v_cndmask_b32 v[vgprValuA_X8_I0+0+0+0+0], v[vgprValuA_X8_I0+0+0+0+0], 0x0, s[32:33] // set 0 if K_idx >= sizeL
v_cndmask_b32 v[vgprValuB_X8_I0+0+0+0+0], v[vgprValuB_X8_I0+0+0+0+0], 0x0, s[32:33] // set 0 if K_idx >= sizeL
v_cndmask_b32 v[vgprValuA_X8_I0+0+0+0+1], v[vgprValuA_X8_I0+0+0+0+1], 0x0, s[32:33] // set 0 if K_idx >= sizeL
v_cndmask_b32 v[vgprValuB_X8_I0+0+0+0+1], v[vgprValuB_X8_I0+0+0+0+1], 0x0, s[32:33] // set 0 if K_idx >= sizeL
_v_sub_u32 v201, s[sgprLoopCounterL], v201         // get distance between size and k index
v_cmp_lt_i32 s[32:33], v201, 4                     // set partial 0 if distance less than input per thread
s_and_b32 s34, s[sgprLoopCounterL], 3              // get inputs for edge thread
s_sub_u32 s34, 4, s34                              // use shift to fill 0 for outside element
s_lshl_b32 s34, s34, 4                             // use shift to fill 0 for outside element
v_mov_b32 v202, -1                                 // set 0xffffffff
v_mov_b32 v203, -1                                 // set 0xffffffff
v_lshrrev_b64 v[202:203], s34, v[202:203]          // rshift mask for partial k
v_cndmask_b32 v202, -1, v202, s[32:33]             // select shifted mask for partial k
v_cndmask_b32 v203, -1, v203, s[32:33]             // select shifted mask for partial k
v_and_b32 v[vgprValuA_X8_I0+0+0+0+0], v[vgprValuA_X8_I0+0+0+0+0], v202 // 
v_and_b32 v[vgprValuA_X8_I0+0+0+0+1], v[vgprValuA_X8_I0+0+0+0+1], v203 // 
v_and_b32 v[vgprValuB_X8_I0+0+0+0+0], v[vgprValuB_X8_I0+0+0+0+0], v202 // 
v_and_b32 v[vgprValuB_X8_I0+0+0+0+1], v[vgprValuB_X8_I0+0+0+0+1], v203 // 
s_nop 1
v_mfma_f32_4x4x4bf16_1k a[0+0:3+0], v[vgprValuA_X8_I0+0+0+0:vgprValuA_X8_I0+0+0+0+1], v[vgprValuB_X8_I0+0+0+0:vgprValuB_X8_I0+0+0+0+1], a[0:3]


/* closeLoop loopL finalLoop=0 tailLoop=1 */
s_sub_i32 s[sgprLoopCounterL], s[sgprLoopCounterL], 0x4 // dec counterL (tailLoop)
s_add_u32 s[sgprOrigLoopCounter], s[sgprOrigLoopCounter], 0x4 // inc counterL
s_cmp_le_i32 s[sgprLoopCounterL], 0x0              // counterL<=0
s_cbranch_scc1 TailLoopEndL_7                      // exit LoopL


/* tail loop unroll iter 9 */


/* local read a */

_ds_load_b64 v[vgprValuA_X9_I0+0:vgprValuA_X9_I0+0+1], v[vgprLocalReadAddrA] offset:0 // L -> Reg lro=0 swapByteOffset=0 ti=128 vIdx=0 rIdx=0 oIdx=0 buffer=9 iui=0


/* local read b */

_ds_load_b64 v[vgprValuB_X9_I0+0:vgprValuB_X9_I0+0+1], v[vgprLocalReadAddrB] offset:0 // L -> Reg lro=0 swapByteOffset=0 ti=4 vIdx=0 rIdx=0 oIdx=0 buffer=9 iui=0


/* local read inc a */

s_mov_b32 s31, 0x8                                 // inc
_v_add_co_u32 v[vgprLocalReadAddrA], vcc, s31, v[vgprLocalReadAddrA] // lrA += 8 (LSU*bpe)


/* local read inc b */

s_mov_b32 s31, 0x8                                 // inc
_v_add_co_u32 v[vgprLocalReadAddrB], vcc, s31, v[vgprLocalReadAddrB] // lrB += 8 (LSU*bpe)

s_waitcnt lgkmcnt(0)                               // lgkmcnt=0 vmcnt=-14wait for local read


	;; [unrolled: 1-line block ×3, first 2 shown]
/* tail loop mfma iter 9: numReadsIterCoalescedA=1, numReadsIterCoalescedB=1 */
v_and_b32 v201, 63, v[vgprSerial]                  // v201 = v[vgprSerial] % 64
v_lshrrev_b32 v201, 6, v201                        // v201 = v201 / 64
v_lshlrev_b32 v201, 0x2, v201                      // v201 = v201 * 4
v_cmp_ge_i32 s[32:33], v201, s[sgprLoopCounterL]   // check K index >= Size L
v_cndmask_b32 v[vgprValuA_X9_I0+0+0+0+0], v[vgprValuA_X9_I0+0+0+0+0], 0x0, s[32:33] // set 0 if K_idx >= sizeL
v_cndmask_b32 v[vgprValuB_X9_I0+0+0+0+0], v[vgprValuB_X9_I0+0+0+0+0], 0x0, s[32:33] // set 0 if K_idx >= sizeL
v_cndmask_b32 v[vgprValuA_X9_I0+0+0+0+1], v[vgprValuA_X9_I0+0+0+0+1], 0x0, s[32:33] // set 0 if K_idx >= sizeL
v_cndmask_b32 v[vgprValuB_X9_I0+0+0+0+1], v[vgprValuB_X9_I0+0+0+0+1], 0x0, s[32:33] // set 0 if K_idx >= sizeL
_v_sub_u32 v201, s[sgprLoopCounterL], v201         // get distance between size and k index
v_cmp_lt_i32 s[32:33], v201, 4                     // set partial 0 if distance less than input per thread
s_and_b32 s34, s[sgprLoopCounterL], 3              // get inputs for edge thread
s_sub_u32 s34, 4, s34                              // use shift to fill 0 for outside element
s_lshl_b32 s34, s34, 4                             // use shift to fill 0 for outside element
v_mov_b32 v202, -1                                 // set 0xffffffff
v_mov_b32 v203, -1                                 // set 0xffffffff
v_lshrrev_b64 v[202:203], s34, v[202:203]          // rshift mask for partial k
v_cndmask_b32 v202, -1, v202, s[32:33]             // select shifted mask for partial k
v_cndmask_b32 v203, -1, v203, s[32:33]             // select shifted mask for partial k
v_and_b32 v[vgprValuA_X9_I0+0+0+0+0], v[vgprValuA_X9_I0+0+0+0+0], v202 // 
v_and_b32 v[vgprValuA_X9_I0+0+0+0+1], v[vgprValuA_X9_I0+0+0+0+1], v203 // 
v_and_b32 v[vgprValuB_X9_I0+0+0+0+0], v[vgprValuB_X9_I0+0+0+0+0], v202 // 
v_and_b32 v[vgprValuB_X9_I0+0+0+0+1], v[vgprValuB_X9_I0+0+0+0+1], v203 // 
s_nop 1
v_mfma_f32_4x4x4bf16_1k a[0+0:3+0], v[vgprValuA_X9_I0+0+0+0:vgprValuA_X9_I0+0+0+0+1], v[vgprValuB_X9_I0+0+0+0:vgprValuB_X9_I0+0+0+0+1], a[0:3]


/* closeLoop loopL finalLoop=0 tailLoop=1 */
s_sub_i32 s[sgprLoopCounterL], s[sgprLoopCounterL], 0x4 // dec counterL (tailLoop)
s_add_u32 s[sgprOrigLoopCounter], s[sgprOrigLoopCounter], 0x4 // inc counterL
s_cmp_le_i32 s[sgprLoopCounterL], 0x0              // counterL<=0
s_cbranch_scc1 TailLoopEndL_7                      // exit LoopL


/* tail loop unroll iter 10 */


/* local read a */

_ds_load_b64 v[vgprValuA_X10_I0+0:vgprValuA_X10_I0+0+1], v[vgprLocalReadAddrA] offset:0 // L -> Reg lro=0 swapByteOffset=0 ti=128 vIdx=0 rIdx=0 oIdx=0 buffer=10 iui=0


/* local read b */

_ds_load_b64 v[vgprValuB_X10_I0+0:vgprValuB_X10_I0+0+1], v[vgprLocalReadAddrB] offset:0 // L -> Reg lro=0 swapByteOffset=0 ti=4 vIdx=0 rIdx=0 oIdx=0 buffer=10 iui=0


/* local read inc a */

s_mov_b32 s31, 0x8                                 // inc
_v_add_co_u32 v[vgprLocalReadAddrA], vcc, s31, v[vgprLocalReadAddrA] // lrA += 8 (LSU*bpe)


/* local read inc b */

s_mov_b32 s31, 0x8                                 // inc
_v_add_co_u32 v[vgprLocalReadAddrB], vcc, s31, v[vgprLocalReadAddrB] // lrB += 8 (LSU*bpe)

s_waitcnt lgkmcnt(0)                               // lgkmcnt=0 vmcnt=-14wait for local read



/* tail loop mfma iter 10: numReadsIterCoalescedA=1, numReadsIterCoalescedB=1 */
v_and_b32 v201, 63, v[vgprSerial]                  // v201 = v[vgprSerial] % 64
v_lshrrev_b32 v201, 6, v201                        // v201 = v201 / 64
v_lshlrev_b32 v201, 0x2, v201                      // v201 = v201 * 4
v_cmp_ge_i32 s[32:33], v201, s[sgprLoopCounterL]   // check K index >= Size L
v_cndmask_b32 v[vgprValuA_X10_I0+0+0+0+0], v[vgprValuA_X10_I0+0+0+0+0], 0x0, s[32:33] // set 0 if K_idx >= sizeL
v_cndmask_b32 v[vgprValuB_X10_I0+0+0+0+0], v[vgprValuB_X10_I0+0+0+0+0], 0x0, s[32:33] // set 0 if K_idx >= sizeL
v_cndmask_b32 v[vgprValuA_X10_I0+0+0+0+1], v[vgprValuA_X10_I0+0+0+0+1], 0x0, s[32:33] // set 0 if K_idx >= sizeL
v_cndmask_b32 v[vgprValuB_X10_I0+0+0+0+1], v[vgprValuB_X10_I0+0+0+0+1], 0x0, s[32:33] // set 0 if K_idx >= sizeL
_v_sub_u32 v201, s[sgprLoopCounterL], v201         // get distance between size and k index
v_cmp_lt_i32 s[32:33], v201, 4                     // set partial 0 if distance less than input per thread
s_and_b32 s34, s[sgprLoopCounterL], 3              // get inputs for edge thread
s_sub_u32 s34, 4, s34                              // use shift to fill 0 for outside element
s_lshl_b32 s34, s34, 4                             // use shift to fill 0 for outside element
v_mov_b32 v202, -1                                 // set 0xffffffff
v_mov_b32 v203, -1                                 // set 0xffffffff
v_lshrrev_b64 v[202:203], s34, v[202:203]          // rshift mask for partial k
v_cndmask_b32 v202, -1, v202, s[32:33]             // select shifted mask for partial k
v_cndmask_b32 v203, -1, v203, s[32:33]             // select shifted mask for partial k
v_and_b32 v[vgprValuA_X10_I0+0+0+0+0], v[vgprValuA_X10_I0+0+0+0+0], v202 // 
v_and_b32 v[vgprValuA_X10_I0+0+0+0+1], v[vgprValuA_X10_I0+0+0+0+1], v203 // 
v_and_b32 v[vgprValuB_X10_I0+0+0+0+0], v[vgprValuB_X10_I0+0+0+0+0], v202 // 
v_and_b32 v[vgprValuB_X10_I0+0+0+0+1], v[vgprValuB_X10_I0+0+0+0+1], v203 // 
s_nop 1
v_mfma_f32_4x4x4bf16_1k a[0+0:3+0], v[vgprValuA_X10_I0+0+0+0:vgprValuA_X10_I0+0+0+0+1], v[vgprValuB_X10_I0+0+0+0:vgprValuB_X10_I0+0+0+0+1], a[0:3]


/* closeLoop loopL finalLoop=0 tailLoop=1 */
s_sub_i32 s[sgprLoopCounterL], s[sgprLoopCounterL], 0x4 // dec counterL (tailLoop)
s_add_u32 s[sgprOrigLoopCounter], s[sgprOrigLoopCounter], 0x4 // inc counterL
s_cmp_le_i32 s[sgprLoopCounterL], 0x0              // counterL<=0
s_cbranch_scc1 TailLoopEndL_7                      // exit LoopL


/* tail loop unroll iter 11 */


/* local read a */

_ds_load_b64 v[vgprValuA_X11_I0+0:vgprValuA_X11_I0+0+1], v[vgprLocalReadAddrA] offset:0 // L -> Reg lro=0 swapByteOffset=0 ti=128 vIdx=0 rIdx=0 oIdx=0 buffer=11 iui=0


/* local read b */

_ds_load_b64 v[vgprValuB_X11_I0+0:vgprValuB_X11_I0+0+1], v[vgprLocalReadAddrB] offset:0 // L -> Reg lro=0 swapByteOffset=0 ti=4 vIdx=0 rIdx=0 oIdx=0 buffer=11 iui=0


/* local read inc a */

s_mov_b32 s31, 0x8                                 // inc
_v_add_co_u32 v[vgprLocalReadAddrA], vcc, s31, v[vgprLocalReadAddrA] // lrA += 8 (LSU*bpe)


/* local read inc b */

s_mov_b32 s31, 0x8                                 // inc
_v_add_co_u32 v[vgprLocalReadAddrB], vcc, s31, v[vgprLocalReadAddrB] // lrB += 8 (LSU*bpe)

s_waitcnt lgkmcnt(0)                               // lgkmcnt=0 vmcnt=-14wait for local read


	;; [unrolled: 1-line block ×3, first 2 shown]
/* tail loop mfma iter 11: numReadsIterCoalescedA=1, numReadsIterCoalescedB=1 */
v_and_b32 v201, 63, v[vgprSerial]                  // v201 = v[vgprSerial] % 64
v_lshrrev_b32 v201, 6, v201                        // v201 = v201 / 64
v_lshlrev_b32 v201, 0x2, v201                      // v201 = v201 * 4
v_cmp_ge_i32 s[32:33], v201, s[sgprLoopCounterL]   // check K index >= Size L
v_cndmask_b32 v[vgprValuA_X11_I0+0+0+0+0], v[vgprValuA_X11_I0+0+0+0+0], 0x0, s[32:33] // set 0 if K_idx >= sizeL
v_cndmask_b32 v[vgprValuB_X11_I0+0+0+0+0], v[vgprValuB_X11_I0+0+0+0+0], 0x0, s[32:33] // set 0 if K_idx >= sizeL
v_cndmask_b32 v[vgprValuA_X11_I0+0+0+0+1], v[vgprValuA_X11_I0+0+0+0+1], 0x0, s[32:33] // set 0 if K_idx >= sizeL
v_cndmask_b32 v[vgprValuB_X11_I0+0+0+0+1], v[vgprValuB_X11_I0+0+0+0+1], 0x0, s[32:33] // set 0 if K_idx >= sizeL
_v_sub_u32 v201, s[sgprLoopCounterL], v201         // get distance between size and k index
v_cmp_lt_i32 s[32:33], v201, 4                     // set partial 0 if distance less than input per thread
s_and_b32 s34, s[sgprLoopCounterL], 3              // get inputs for edge thread
s_sub_u32 s34, 4, s34                              // use shift to fill 0 for outside element
s_lshl_b32 s34, s34, 4                             // use shift to fill 0 for outside element
v_mov_b32 v202, -1                                 // set 0xffffffff
v_mov_b32 v203, -1                                 // set 0xffffffff
v_lshrrev_b64 v[202:203], s34, v[202:203]          // rshift mask for partial k
v_cndmask_b32 v202, -1, v202, s[32:33]             // select shifted mask for partial k
v_cndmask_b32 v203, -1, v203, s[32:33]             // select shifted mask for partial k
v_and_b32 v[vgprValuA_X11_I0+0+0+0+0], v[vgprValuA_X11_I0+0+0+0+0], v202 // 
v_and_b32 v[vgprValuA_X11_I0+0+0+0+1], v[vgprValuA_X11_I0+0+0+0+1], v203 // 
v_and_b32 v[vgprValuB_X11_I0+0+0+0+0], v[vgprValuB_X11_I0+0+0+0+0], v202 // 
v_and_b32 v[vgprValuB_X11_I0+0+0+0+1], v[vgprValuB_X11_I0+0+0+0+1], v203 // 
s_nop 1
v_mfma_f32_4x4x4bf16_1k a[0+0:3+0], v[vgprValuA_X11_I0+0+0+0:vgprValuA_X11_I0+0+0+0+1], v[vgprValuB_X11_I0+0+0+0:vgprValuB_X11_I0+0+0+0+1], a[0:3]


/* closeLoop loopL finalLoop=0 tailLoop=1 */
s_sub_i32 s[sgprLoopCounterL], s[sgprLoopCounterL], 0x4 // dec counterL (tailLoop)
s_add_u32 s[sgprOrigLoopCounter], s[sgprOrigLoopCounter], 0x4 // inc counterL
s_cmp_le_i32 s[sgprLoopCounterL], 0x0              // counterL<=0
s_cbranch_scc1 TailLoopEndL_7                      // exit LoopL


/* tail loop unroll iter 12 */


/* local read a */

_ds_load_b64 v[vgprValuA_X12_I0+0:vgprValuA_X12_I0+0+1], v[vgprLocalReadAddrA] offset:0 // L -> Reg lro=0 swapByteOffset=0 ti=128 vIdx=0 rIdx=0 oIdx=0 buffer=12 iui=0


/* local read b */

_ds_load_b64 v[vgprValuB_X12_I0+0:vgprValuB_X12_I0+0+1], v[vgprLocalReadAddrB] offset:0 // L -> Reg lro=0 swapByteOffset=0 ti=4 vIdx=0 rIdx=0 oIdx=0 buffer=12 iui=0


/* local read inc a */

s_mov_b32 s31, 0x8                                 // inc
_v_add_co_u32 v[vgprLocalReadAddrA], vcc, s31, v[vgprLocalReadAddrA] // lrA += 8 (LSU*bpe)


/* local read inc b */

s_mov_b32 s31, 0x8                                 // inc
_v_add_co_u32 v[vgprLocalReadAddrB], vcc, s31, v[vgprLocalReadAddrB] // lrB += 8 (LSU*bpe)

s_waitcnt lgkmcnt(0)                               // lgkmcnt=0 vmcnt=-14wait for local read


	;; [unrolled: 1-line block ×3, first 2 shown]
/* tail loop mfma iter 12: numReadsIterCoalescedA=1, numReadsIterCoalescedB=1 */
v_and_b32 v201, 63, v[vgprSerial]                  // v201 = v[vgprSerial] % 64
v_lshrrev_b32 v201, 6, v201                        // v201 = v201 / 64
v_lshlrev_b32 v201, 0x2, v201                      // v201 = v201 * 4
v_cmp_ge_i32 s[32:33], v201, s[sgprLoopCounterL]   // check K index >= Size L
v_cndmask_b32 v[vgprValuA_X12_I0+0+0+0+0], v[vgprValuA_X12_I0+0+0+0+0], 0x0, s[32:33] // set 0 if K_idx >= sizeL
v_cndmask_b32 v[vgprValuB_X12_I0+0+0+0+0], v[vgprValuB_X12_I0+0+0+0+0], 0x0, s[32:33] // set 0 if K_idx >= sizeL
v_cndmask_b32 v[vgprValuA_X12_I0+0+0+0+1], v[vgprValuA_X12_I0+0+0+0+1], 0x0, s[32:33] // set 0 if K_idx >= sizeL
v_cndmask_b32 v[vgprValuB_X12_I0+0+0+0+1], v[vgprValuB_X12_I0+0+0+0+1], 0x0, s[32:33] // set 0 if K_idx >= sizeL
_v_sub_u32 v201, s[sgprLoopCounterL], v201         // get distance between size and k index
v_cmp_lt_i32 s[32:33], v201, 4                     // set partial 0 if distance less than input per thread
s_and_b32 s34, s[sgprLoopCounterL], 3              // get inputs for edge thread
s_sub_u32 s34, 4, s34                              // use shift to fill 0 for outside element
s_lshl_b32 s34, s34, 4                             // use shift to fill 0 for outside element
v_mov_b32 v202, -1                                 // set 0xffffffff
v_mov_b32 v203, -1                                 // set 0xffffffff
v_lshrrev_b64 v[202:203], s34, v[202:203]          // rshift mask for partial k
v_cndmask_b32 v202, -1, v202, s[32:33]             // select shifted mask for partial k
v_cndmask_b32 v203, -1, v203, s[32:33]             // select shifted mask for partial k
v_and_b32 v[vgprValuA_X12_I0+0+0+0+0], v[vgprValuA_X12_I0+0+0+0+0], v202 // 
v_and_b32 v[vgprValuA_X12_I0+0+0+0+1], v[vgprValuA_X12_I0+0+0+0+1], v203 // 
v_and_b32 v[vgprValuB_X12_I0+0+0+0+0], v[vgprValuB_X12_I0+0+0+0+0], v202 // 
v_and_b32 v[vgprValuB_X12_I0+0+0+0+1], v[vgprValuB_X12_I0+0+0+0+1], v203 // 
s_nop 1
v_mfma_f32_4x4x4bf16_1k a[0+0:3+0], v[vgprValuA_X12_I0+0+0+0:vgprValuA_X12_I0+0+0+0+1], v[vgprValuB_X12_I0+0+0+0:vgprValuB_X12_I0+0+0+0+1], a[0:3]


/* closeLoop loopL finalLoop=0 tailLoop=1 */
s_sub_i32 s[sgprLoopCounterL], s[sgprLoopCounterL], 0x4 // dec counterL (tailLoop)
s_add_u32 s[sgprOrigLoopCounter], s[sgprOrigLoopCounter], 0x4 // inc counterL
s_cmp_le_i32 s[sgprLoopCounterL], 0x0              // counterL<=0
s_cbranch_scc1 TailLoopEndL_7                      // exit LoopL


/* tail loop unroll iter 13 */


/* local read a */

_ds_load_b64 v[vgprValuA_X13_I0+0:vgprValuA_X13_I0+0+1], v[vgprLocalReadAddrA] offset:0 // L -> Reg lro=0 swapByteOffset=0 ti=128 vIdx=0 rIdx=0 oIdx=0 buffer=13 iui=0


/* local read b */

_ds_load_b64 v[vgprValuB_X13_I0+0:vgprValuB_X13_I0+0+1], v[vgprLocalReadAddrB] offset:0 // L -> Reg lro=0 swapByteOffset=0 ti=4 vIdx=0 rIdx=0 oIdx=0 buffer=13 iui=0


/* local read inc a */

s_mov_b32 s31, 0x8                                 // inc
_v_add_co_u32 v[vgprLocalReadAddrA], vcc, s31, v[vgprLocalReadAddrA] // lrA += 8 (LSU*bpe)


/* local read inc b */

s_mov_b32 s31, 0x8                                 // inc
_v_add_co_u32 v[vgprLocalReadAddrB], vcc, s31, v[vgprLocalReadAddrB] // lrB += 8 (LSU*bpe)

s_waitcnt lgkmcnt(0)                               // lgkmcnt=0 vmcnt=-14wait for local read



/* tail loop mfma iter 13: numReadsIterCoalescedA=1, numReadsIterCoalescedB=1 */
v_and_b32 v201, 63, v[vgprSerial]                  // v201 = v[vgprSerial] % 64
v_lshrrev_b32 v201, 6, v201                        // v201 = v201 / 64
v_lshlrev_b32 v201, 0x2, v201                      // v201 = v201 * 4
v_cmp_ge_i32 s[32:33], v201, s[sgprLoopCounterL]   // check K index >= Size L
v_cndmask_b32 v[vgprValuA_X13_I0+0+0+0+0], v[vgprValuA_X13_I0+0+0+0+0], 0x0, s[32:33] // set 0 if K_idx >= sizeL
v_cndmask_b32 v[vgprValuB_X13_I0+0+0+0+0], v[vgprValuB_X13_I0+0+0+0+0], 0x0, s[32:33] // set 0 if K_idx >= sizeL
v_cndmask_b32 v[vgprValuA_X13_I0+0+0+0+1], v[vgprValuA_X13_I0+0+0+0+1], 0x0, s[32:33] // set 0 if K_idx >= sizeL
v_cndmask_b32 v[vgprValuB_X13_I0+0+0+0+1], v[vgprValuB_X13_I0+0+0+0+1], 0x0, s[32:33] // set 0 if K_idx >= sizeL
_v_sub_u32 v201, s[sgprLoopCounterL], v201         // get distance between size and k index
v_cmp_lt_i32 s[32:33], v201, 4                     // set partial 0 if distance less than input per thread
s_and_b32 s34, s[sgprLoopCounterL], 3              // get inputs for edge thread
s_sub_u32 s34, 4, s34                              // use shift to fill 0 for outside element
s_lshl_b32 s34, s34, 4                             // use shift to fill 0 for outside element
v_mov_b32 v202, -1                                 // set 0xffffffff
v_mov_b32 v203, -1                                 // set 0xffffffff
v_lshrrev_b64 v[202:203], s34, v[202:203]          // rshift mask for partial k
v_cndmask_b32 v202, -1, v202, s[32:33]             // select shifted mask for partial k
v_cndmask_b32 v203, -1, v203, s[32:33]             // select shifted mask for partial k
v_and_b32 v[vgprValuA_X13_I0+0+0+0+0], v[vgprValuA_X13_I0+0+0+0+0], v202 // 
v_and_b32 v[vgprValuA_X13_I0+0+0+0+1], v[vgprValuA_X13_I0+0+0+0+1], v203 // 
v_and_b32 v[vgprValuB_X13_I0+0+0+0+0], v[vgprValuB_X13_I0+0+0+0+0], v202 // 
v_and_b32 v[vgprValuB_X13_I0+0+0+0+1], v[vgprValuB_X13_I0+0+0+0+1], v203 // 
s_nop 1
v_mfma_f32_4x4x4bf16_1k a[0+0:3+0], v[vgprValuA_X13_I0+0+0+0:vgprValuA_X13_I0+0+0+0+1], v[vgprValuB_X13_I0+0+0+0:vgprValuB_X13_I0+0+0+0+1], a[0:3]


/* closeLoop loopL finalLoop=0 tailLoop=1 */
s_sub_i32 s[sgprLoopCounterL], s[sgprLoopCounterL], 0x4 // dec counterL (tailLoop)
s_add_u32 s[sgprOrigLoopCounter], s[sgprOrigLoopCounter], 0x4 // inc counterL
s_cmp_le_i32 s[sgprLoopCounterL], 0x0              // counterL<=0
s_cbranch_scc1 TailLoopEndL_7                      // exit LoopL


/* tail loop unroll iter 14 */


/* local read a */

_ds_load_b64 v[vgprValuA_X14_I0+0:vgprValuA_X14_I0+0+1], v[vgprLocalReadAddrA] offset:0 // L -> Reg lro=0 swapByteOffset=0 ti=128 vIdx=0 rIdx=0 oIdx=0 buffer=14 iui=0


/* local read b */

_ds_load_b64 v[vgprValuB_X14_I0+0:vgprValuB_X14_I0+0+1], v[vgprLocalReadAddrB] offset:0 // L -> Reg lro=0 swapByteOffset=0 ti=4 vIdx=0 rIdx=0 oIdx=0 buffer=14 iui=0


/* local read inc a */

s_mov_b32 s31, 0x8                                 // inc
_v_add_co_u32 v[vgprLocalReadAddrA], vcc, s31, v[vgprLocalReadAddrA] // lrA += 8 (LSU*bpe)


/* local read inc b */

s_mov_b32 s31, 0x8                                 // inc
_v_add_co_u32 v[vgprLocalReadAddrB], vcc, s31, v[vgprLocalReadAddrB] // lrB += 8 (LSU*bpe)

s_waitcnt lgkmcnt(0)                               // lgkmcnt=0 vmcnt=-14wait for local read


	;; [unrolled: 1-line block ×3, first 2 shown]
/* tail loop mfma iter 14: numReadsIterCoalescedA=1, numReadsIterCoalescedB=1 */
v_and_b32 v201, 63, v[vgprSerial]                  // v201 = v[vgprSerial] % 64
v_lshrrev_b32 v201, 6, v201                        // v201 = v201 / 64
v_lshlrev_b32 v201, 0x2, v201                      // v201 = v201 * 4
v_cmp_ge_i32 s[32:33], v201, s[sgprLoopCounterL]   // check K index >= Size L
v_cndmask_b32 v[vgprValuA_X14_I0+0+0+0+0], v[vgprValuA_X14_I0+0+0+0+0], 0x0, s[32:33] // set 0 if K_idx >= sizeL
v_cndmask_b32 v[vgprValuB_X14_I0+0+0+0+0], v[vgprValuB_X14_I0+0+0+0+0], 0x0, s[32:33] // set 0 if K_idx >= sizeL
v_cndmask_b32 v[vgprValuA_X14_I0+0+0+0+1], v[vgprValuA_X14_I0+0+0+0+1], 0x0, s[32:33] // set 0 if K_idx >= sizeL
v_cndmask_b32 v[vgprValuB_X14_I0+0+0+0+1], v[vgprValuB_X14_I0+0+0+0+1], 0x0, s[32:33] // set 0 if K_idx >= sizeL
_v_sub_u32 v201, s[sgprLoopCounterL], v201         // get distance between size and k index
v_cmp_lt_i32 s[32:33], v201, 4                     // set partial 0 if distance less than input per thread
s_and_b32 s34, s[sgprLoopCounterL], 3              // get inputs for edge thread
s_sub_u32 s34, 4, s34                              // use shift to fill 0 for outside element
s_lshl_b32 s34, s34, 4                             // use shift to fill 0 for outside element
v_mov_b32 v202, -1                                 // set 0xffffffff
v_mov_b32 v203, -1                                 // set 0xffffffff
v_lshrrev_b64 v[202:203], s34, v[202:203]          // rshift mask for partial k
v_cndmask_b32 v202, -1, v202, s[32:33]             // select shifted mask for partial k
v_cndmask_b32 v203, -1, v203, s[32:33]             // select shifted mask for partial k
v_and_b32 v[vgprValuA_X14_I0+0+0+0+0], v[vgprValuA_X14_I0+0+0+0+0], v202 // 
v_and_b32 v[vgprValuA_X14_I0+0+0+0+1], v[vgprValuA_X14_I0+0+0+0+1], v203 // 
v_and_b32 v[vgprValuB_X14_I0+0+0+0+0], v[vgprValuB_X14_I0+0+0+0+0], v202 // 
v_and_b32 v[vgprValuB_X14_I0+0+0+0+1], v[vgprValuB_X14_I0+0+0+0+1], v203 // 
s_nop 1
v_mfma_f32_4x4x4bf16_1k a[0+0:3+0], v[vgprValuA_X14_I0+0+0+0:vgprValuA_X14_I0+0+0+0+1], v[vgprValuB_X14_I0+0+0+0:vgprValuB_X14_I0+0+0+0+1], a[0:3]


/* closeLoop loopL finalLoop=0 tailLoop=1 */
s_sub_i32 s[sgprLoopCounterL], s[sgprLoopCounterL], 0x4 // dec counterL (tailLoop)
s_add_u32 s[sgprOrigLoopCounter], s[sgprOrigLoopCounter], 0x4 // inc counterL
s_cmp_le_i32 s[sgprLoopCounterL], 0x0              // counterL<=0
s_cbranch_scc1 TailLoopEndL_7                      // exit LoopL


/* tail loop unroll iter 15 */


/* local read a */

_ds_load_b64 v[vgprValuA_X15_I0+0:vgprValuA_X15_I0+0+1], v[vgprLocalReadAddrA] offset:0 // L -> Reg lro=0 swapByteOffset=0 ti=128 vIdx=0 rIdx=0 oIdx=0 buffer=15 iui=0


/* local read b */

_ds_load_b64 v[vgprValuB_X15_I0+0:vgprValuB_X15_I0+0+1], v[vgprLocalReadAddrB] offset:0 // L -> Reg lro=0 swapByteOffset=0 ti=4 vIdx=0 rIdx=0 oIdx=0 buffer=15 iui=0


/* local read inc a */

s_mov_b32 s31, 0x8                                 // inc
_v_add_co_u32 v[vgprLocalReadAddrA], vcc, s31, v[vgprLocalReadAddrA] // lrA += 8 (LSU*bpe)


/* local read inc b */

s_mov_b32 s31, 0x8                                 // inc
_v_add_co_u32 v[vgprLocalReadAddrB], vcc, s31, v[vgprLocalReadAddrB] // lrB += 8 (LSU*bpe)

s_waitcnt lgkmcnt(0)                               // lgkmcnt=0 vmcnt=-14wait for local read


	;; [unrolled: 1-line block ×3, first 2 shown]
/* tail loop mfma iter 15: numReadsIterCoalescedA=1, numReadsIterCoalescedB=1 */
v_and_b32 v201, 63, v[vgprSerial]                  // v201 = v[vgprSerial] % 64
v_lshrrev_b32 v201, 6, v201                        // v201 = v201 / 64
v_lshlrev_b32 v201, 0x2, v201                      // v201 = v201 * 4
v_cmp_ge_i32 s[32:33], v201, s[sgprLoopCounterL]   // check K index >= Size L
v_cndmask_b32 v[vgprValuA_X15_I0+0+0+0+0], v[vgprValuA_X15_I0+0+0+0+0], 0x0, s[32:33] // set 0 if K_idx >= sizeL
v_cndmask_b32 v[vgprValuB_X15_I0+0+0+0+0], v[vgprValuB_X15_I0+0+0+0+0], 0x0, s[32:33] // set 0 if K_idx >= sizeL
v_cndmask_b32 v[vgprValuA_X15_I0+0+0+0+1], v[vgprValuA_X15_I0+0+0+0+1], 0x0, s[32:33] // set 0 if K_idx >= sizeL
v_cndmask_b32 v[vgprValuB_X15_I0+0+0+0+1], v[vgprValuB_X15_I0+0+0+0+1], 0x0, s[32:33] // set 0 if K_idx >= sizeL
_v_sub_u32 v201, s[sgprLoopCounterL], v201         // get distance between size and k index
v_cmp_lt_i32 s[32:33], v201, 4                     // set partial 0 if distance less than input per thread
s_and_b32 s34, s[sgprLoopCounterL], 3              // get inputs for edge thread
s_sub_u32 s34, 4, s34                              // use shift to fill 0 for outside element
s_lshl_b32 s34, s34, 4                             // use shift to fill 0 for outside element
v_mov_b32 v202, -1                                 // set 0xffffffff
v_mov_b32 v203, -1                                 // set 0xffffffff
v_lshrrev_b64 v[202:203], s34, v[202:203]          // rshift mask for partial k
v_cndmask_b32 v202, -1, v202, s[32:33]             // select shifted mask for partial k
v_cndmask_b32 v203, -1, v203, s[32:33]             // select shifted mask for partial k
v_and_b32 v[vgprValuA_X15_I0+0+0+0+0], v[vgprValuA_X15_I0+0+0+0+0], v202 // 
v_and_b32 v[vgprValuA_X15_I0+0+0+0+1], v[vgprValuA_X15_I0+0+0+0+1], v203 // 
v_and_b32 v[vgprValuB_X15_I0+0+0+0+0], v[vgprValuB_X15_I0+0+0+0+0], v202 // 
v_and_b32 v[vgprValuB_X15_I0+0+0+0+1], v[vgprValuB_X15_I0+0+0+0+1], v203 // 
s_nop 1
v_mfma_f32_4x4x4bf16_1k a[0+0:3+0], v[vgprValuA_X15_I0+0+0+0:vgprValuA_X15_I0+0+0+0+1], v[vgprValuB_X15_I0+0+0+0:vgprValuB_X15_I0+0+0+0+1], a[0:3]


/* closeLoop loopL finalLoop=0 tailLoop=1 */
s_sub_i32 s[sgprLoopCounterL], s[sgprLoopCounterL], 0x4 // dec counterL (tailLoop)
s_add_u32 s[sgprOrigLoopCounter], s[sgprOrigLoopCounter], 0x4 // inc counterL
s_cmp_le_i32 s[sgprLoopCounterL], 0x0              // counterL<=0
s_cbranch_scc1 TailLoopEndL_7                      // exit LoopL


/* tail loop unroll iter 16 */


/* local read a */

_ds_load_b64 v[vgprValuA_X16_I0+0:vgprValuA_X16_I0+0+1], v[vgprLocalReadAddrA] offset:0 // L -> Reg lro=0 swapByteOffset=0 ti=128 vIdx=0 rIdx=0 oIdx=0 buffer=16 iui=0


/* local read b */

_ds_load_b64 v[vgprValuB_X16_I0+0:vgprValuB_X16_I0+0+1], v[vgprLocalReadAddrB] offset:0 // L -> Reg lro=0 swapByteOffset=0 ti=4 vIdx=0 rIdx=0 oIdx=0 buffer=16 iui=0


/* local read inc a */

s_mov_b32 s31, 0x8                                 // inc
_v_add_co_u32 v[vgprLocalReadAddrA], vcc, s31, v[vgprLocalReadAddrA] // lrA += 8 (LSU*bpe)


/* local read inc b */

s_mov_b32 s31, 0x8                                 // inc
_v_add_co_u32 v[vgprLocalReadAddrB], vcc, s31, v[vgprLocalReadAddrB] // lrB += 8 (LSU*bpe)

s_waitcnt lgkmcnt(0)                               // lgkmcnt=0 vmcnt=-14wait for local read


	;; [unrolled: 1-line block ×3, first 2 shown]
/* tail loop mfma iter 16: numReadsIterCoalescedA=1, numReadsIterCoalescedB=1 */
v_and_b32 v201, 63, v[vgprSerial]                  // v201 = v[vgprSerial] % 64
v_lshrrev_b32 v201, 6, v201                        // v201 = v201 / 64
v_lshlrev_b32 v201, 0x2, v201                      // v201 = v201 * 4
v_cmp_ge_i32 s[32:33], v201, s[sgprLoopCounterL]   // check K index >= Size L
v_cndmask_b32 v[vgprValuA_X16_I0+0+0+0+0], v[vgprValuA_X16_I0+0+0+0+0], 0x0, s[32:33] // set 0 if K_idx >= sizeL
v_cndmask_b32 v[vgprValuB_X16_I0+0+0+0+0], v[vgprValuB_X16_I0+0+0+0+0], 0x0, s[32:33] // set 0 if K_idx >= sizeL
v_cndmask_b32 v[vgprValuA_X16_I0+0+0+0+1], v[vgprValuA_X16_I0+0+0+0+1], 0x0, s[32:33] // set 0 if K_idx >= sizeL
v_cndmask_b32 v[vgprValuB_X16_I0+0+0+0+1], v[vgprValuB_X16_I0+0+0+0+1], 0x0, s[32:33] // set 0 if K_idx >= sizeL
_v_sub_u32 v201, s[sgprLoopCounterL], v201         // get distance between size and k index
v_cmp_lt_i32 s[32:33], v201, 4                     // set partial 0 if distance less than input per thread
s_and_b32 s34, s[sgprLoopCounterL], 3              // get inputs for edge thread
s_sub_u32 s34, 4, s34                              // use shift to fill 0 for outside element
s_lshl_b32 s34, s34, 4                             // use shift to fill 0 for outside element
v_mov_b32 v202, -1                                 // set 0xffffffff
v_mov_b32 v203, -1                                 // set 0xffffffff
v_lshrrev_b64 v[202:203], s34, v[202:203]          // rshift mask for partial k
v_cndmask_b32 v202, -1, v202, s[32:33]             // select shifted mask for partial k
v_cndmask_b32 v203, -1, v203, s[32:33]             // select shifted mask for partial k
v_and_b32 v[vgprValuA_X16_I0+0+0+0+0], v[vgprValuA_X16_I0+0+0+0+0], v202 // 
v_and_b32 v[vgprValuA_X16_I0+0+0+0+1], v[vgprValuA_X16_I0+0+0+0+1], v203 // 
v_and_b32 v[vgprValuB_X16_I0+0+0+0+0], v[vgprValuB_X16_I0+0+0+0+0], v202 // 
v_and_b32 v[vgprValuB_X16_I0+0+0+0+1], v[vgprValuB_X16_I0+0+0+0+1], v203 // 
s_nop 1
v_mfma_f32_4x4x4bf16_1k a[0+0:3+0], v[vgprValuA_X16_I0+0+0+0:vgprValuA_X16_I0+0+0+0+1], v[vgprValuB_X16_I0+0+0+0:vgprValuB_X16_I0+0+0+0+1], a[0:3]


/* closeLoop loopL finalLoop=0 tailLoop=1 */
s_sub_i32 s[sgprLoopCounterL], s[sgprLoopCounterL], 0x4 // dec counterL (tailLoop)
s_add_u32 s[sgprOrigLoopCounter], s[sgprOrigLoopCounter], 0x4 // inc counterL
s_cmp_le_i32 s[sgprLoopCounterL], 0x0              // counterL<=0
s_cbranch_scc1 TailLoopEndL_7                      // exit LoopL


/* tail loop unroll iter 17 */


/* local read a */

_ds_load_b64 v[vgprValuA_X17_I0+0:vgprValuA_X17_I0+0+1], v[vgprLocalReadAddrA] offset:0 // L -> Reg lro=0 swapByteOffset=0 ti=128 vIdx=0 rIdx=0 oIdx=0 buffer=17 iui=0


/* local read b */

_ds_load_b64 v[vgprValuB_X17_I0+0:vgprValuB_X17_I0+0+1], v[vgprLocalReadAddrB] offset:0 // L -> Reg lro=0 swapByteOffset=0 ti=4 vIdx=0 rIdx=0 oIdx=0 buffer=17 iui=0


/* local read inc a */

s_mov_b32 s31, 0x8                                 // inc
_v_add_co_u32 v[vgprLocalReadAddrA], vcc, s31, v[vgprLocalReadAddrA] // lrA += 8 (LSU*bpe)


/* local read inc b */

s_mov_b32 s31, 0x8                                 // inc
_v_add_co_u32 v[vgprLocalReadAddrB], vcc, s31, v[vgprLocalReadAddrB] // lrB += 8 (LSU*bpe)

s_waitcnt lgkmcnt(0)                               // lgkmcnt=0 vmcnt=-14wait for local read


	;; [unrolled: 1-line block ×3, first 2 shown]
/* tail loop mfma iter 17: numReadsIterCoalescedA=1, numReadsIterCoalescedB=1 */
v_and_b32 v201, 63, v[vgprSerial]                  // v201 = v[vgprSerial] % 64
v_lshrrev_b32 v201, 6, v201                        // v201 = v201 / 64
v_lshlrev_b32 v201, 0x2, v201                      // v201 = v201 * 4
v_cmp_ge_i32 s[32:33], v201, s[sgprLoopCounterL]   // check K index >= Size L
v_cndmask_b32 v[vgprValuA_X17_I0+0+0+0+0], v[vgprValuA_X17_I0+0+0+0+0], 0x0, s[32:33] // set 0 if K_idx >= sizeL
v_cndmask_b32 v[vgprValuB_X17_I0+0+0+0+0], v[vgprValuB_X17_I0+0+0+0+0], 0x0, s[32:33] // set 0 if K_idx >= sizeL
v_cndmask_b32 v[vgprValuA_X17_I0+0+0+0+1], v[vgprValuA_X17_I0+0+0+0+1], 0x0, s[32:33] // set 0 if K_idx >= sizeL
v_cndmask_b32 v[vgprValuB_X17_I0+0+0+0+1], v[vgprValuB_X17_I0+0+0+0+1], 0x0, s[32:33] // set 0 if K_idx >= sizeL
_v_sub_u32 v201, s[sgprLoopCounterL], v201         // get distance between size and k index
v_cmp_lt_i32 s[32:33], v201, 4                     // set partial 0 if distance less than input per thread
s_and_b32 s34, s[sgprLoopCounterL], 3              // get inputs for edge thread
s_sub_u32 s34, 4, s34                              // use shift to fill 0 for outside element
s_lshl_b32 s34, s34, 4                             // use shift to fill 0 for outside element
v_mov_b32 v202, -1                                 // set 0xffffffff
v_mov_b32 v203, -1                                 // set 0xffffffff
v_lshrrev_b64 v[202:203], s34, v[202:203]          // rshift mask for partial k
v_cndmask_b32 v202, -1, v202, s[32:33]             // select shifted mask for partial k
v_cndmask_b32 v203, -1, v203, s[32:33]             // select shifted mask for partial k
v_and_b32 v[vgprValuA_X17_I0+0+0+0+0], v[vgprValuA_X17_I0+0+0+0+0], v202 // 
v_and_b32 v[vgprValuA_X17_I0+0+0+0+1], v[vgprValuA_X17_I0+0+0+0+1], v203 // 
v_and_b32 v[vgprValuB_X17_I0+0+0+0+0], v[vgprValuB_X17_I0+0+0+0+0], v202 // 
v_and_b32 v[vgprValuB_X17_I0+0+0+0+1], v[vgprValuB_X17_I0+0+0+0+1], v203 // 
s_nop 1
v_mfma_f32_4x4x4bf16_1k a[0+0:3+0], v[vgprValuA_X17_I0+0+0+0:vgprValuA_X17_I0+0+0+0+1], v[vgprValuB_X17_I0+0+0+0:vgprValuB_X17_I0+0+0+0+1], a[0:3]


/* closeLoop loopL finalLoop=0 tailLoop=1 */
s_sub_i32 s[sgprLoopCounterL], s[sgprLoopCounterL], 0x4 // dec counterL (tailLoop)
s_add_u32 s[sgprOrigLoopCounter], s[sgprOrigLoopCounter], 0x4 // inc counterL
s_cmp_le_i32 s[sgprLoopCounterL], 0x0              // counterL<=0
s_cbranch_scc1 TailLoopEndL_7                      // exit LoopL


/* tail loop unroll iter 18 */


/* local read a */

_ds_load_b64 v[vgprValuA_X18_I0+0:vgprValuA_X18_I0+0+1], v[vgprLocalReadAddrA] offset:0 // L -> Reg lro=0 swapByteOffset=0 ti=128 vIdx=0 rIdx=0 oIdx=0 buffer=18 iui=0


/* local read b */

_ds_load_b64 v[vgprValuB_X18_I0+0:vgprValuB_X18_I0+0+1], v[vgprLocalReadAddrB] offset:0 // L -> Reg lro=0 swapByteOffset=0 ti=4 vIdx=0 rIdx=0 oIdx=0 buffer=18 iui=0


/* local read inc a */

s_mov_b32 s31, 0x8                                 // inc
_v_add_co_u32 v[vgprLocalReadAddrA], vcc, s31, v[vgprLocalReadAddrA] // lrA += 8 (LSU*bpe)


/* local read inc b */

s_mov_b32 s31, 0x8                                 // inc
_v_add_co_u32 v[vgprLocalReadAddrB], vcc, s31, v[vgprLocalReadAddrB] // lrB += 8 (LSU*bpe)

s_waitcnt lgkmcnt(0)                               // lgkmcnt=0 vmcnt=-14wait for local read


	;; [unrolled: 1-line block ×3, first 2 shown]
/* tail loop mfma iter 18: numReadsIterCoalescedA=1, numReadsIterCoalescedB=1 */
v_and_b32 v201, 63, v[vgprSerial]                  // v201 = v[vgprSerial] % 64
v_lshrrev_b32 v201, 6, v201                        // v201 = v201 / 64
v_lshlrev_b32 v201, 0x2, v201                      // v201 = v201 * 4
v_cmp_ge_i32 s[32:33], v201, s[sgprLoopCounterL]   // check K index >= Size L
v_cndmask_b32 v[vgprValuA_X18_I0+0+0+0+0], v[vgprValuA_X18_I0+0+0+0+0], 0x0, s[32:33] // set 0 if K_idx >= sizeL
v_cndmask_b32 v[vgprValuB_X18_I0+0+0+0+0], v[vgprValuB_X18_I0+0+0+0+0], 0x0, s[32:33] // set 0 if K_idx >= sizeL
v_cndmask_b32 v[vgprValuA_X18_I0+0+0+0+1], v[vgprValuA_X18_I0+0+0+0+1], 0x0, s[32:33] // set 0 if K_idx >= sizeL
v_cndmask_b32 v[vgprValuB_X18_I0+0+0+0+1], v[vgprValuB_X18_I0+0+0+0+1], 0x0, s[32:33] // set 0 if K_idx >= sizeL
_v_sub_u32 v201, s[sgprLoopCounterL], v201         // get distance between size and k index
v_cmp_lt_i32 s[32:33], v201, 4                     // set partial 0 if distance less than input per thread
s_and_b32 s34, s[sgprLoopCounterL], 3              // get inputs for edge thread
s_sub_u32 s34, 4, s34                              // use shift to fill 0 for outside element
s_lshl_b32 s34, s34, 4                             // use shift to fill 0 for outside element
v_mov_b32 v202, -1                                 // set 0xffffffff
v_mov_b32 v203, -1                                 // set 0xffffffff
v_lshrrev_b64 v[202:203], s34, v[202:203]          // rshift mask for partial k
v_cndmask_b32 v202, -1, v202, s[32:33]             // select shifted mask for partial k
v_cndmask_b32 v203, -1, v203, s[32:33]             // select shifted mask for partial k
v_and_b32 v[vgprValuA_X18_I0+0+0+0+0], v[vgprValuA_X18_I0+0+0+0+0], v202 // 
v_and_b32 v[vgprValuA_X18_I0+0+0+0+1], v[vgprValuA_X18_I0+0+0+0+1], v203 // 
v_and_b32 v[vgprValuB_X18_I0+0+0+0+0], v[vgprValuB_X18_I0+0+0+0+0], v202 // 
v_and_b32 v[vgprValuB_X18_I0+0+0+0+1], v[vgprValuB_X18_I0+0+0+0+1], v203 // 
s_nop 1
v_mfma_f32_4x4x4bf16_1k a[0+0:3+0], v[vgprValuA_X18_I0+0+0+0:vgprValuA_X18_I0+0+0+0+1], v[vgprValuB_X18_I0+0+0+0:vgprValuB_X18_I0+0+0+0+1], a[0:3]


/* closeLoop loopL finalLoop=0 tailLoop=1 */
s_sub_i32 s[sgprLoopCounterL], s[sgprLoopCounterL], 0x4 // dec counterL (tailLoop)
s_add_u32 s[sgprOrigLoopCounter], s[sgprOrigLoopCounter], 0x4 // inc counterL
s_cmp_le_i32 s[sgprLoopCounterL], 0x0              // counterL<=0
s_cbranch_scc1 TailLoopEndL_7                      // exit LoopL


/* tail loop unroll iter 19 */


/* local read a */

_ds_load_b64 v[vgprValuA_X19_I0+0:vgprValuA_X19_I0+0+1], v[vgprLocalReadAddrA] offset:0 // L -> Reg lro=0 swapByteOffset=0 ti=128 vIdx=0 rIdx=0 oIdx=0 buffer=19 iui=0


/* local read b */

_ds_load_b64 v[vgprValuB_X19_I0+0:vgprValuB_X19_I0+0+1], v[vgprLocalReadAddrB] offset:0 // L -> Reg lro=0 swapByteOffset=0 ti=4 vIdx=0 rIdx=0 oIdx=0 buffer=19 iui=0


/* local read inc a */

s_mov_b32 s31, 0x8                                 // inc
_v_add_co_u32 v[vgprLocalReadAddrA], vcc, s31, v[vgprLocalReadAddrA] // lrA += 8 (LSU*bpe)


/* local read inc b */

s_mov_b32 s31, 0x8                                 // inc
_v_add_co_u32 v[vgprLocalReadAddrB], vcc, s31, v[vgprLocalReadAddrB] // lrB += 8 (LSU*bpe)

s_waitcnt lgkmcnt(0)                               // lgkmcnt=0 vmcnt=-14wait for local read


	;; [unrolled: 1-line block ×3, first 2 shown]
/* tail loop mfma iter 19: numReadsIterCoalescedA=1, numReadsIterCoalescedB=1 */
v_and_b32 v201, 63, v[vgprSerial]                  // v201 = v[vgprSerial] % 64
v_lshrrev_b32 v201, 6, v201                        // v201 = v201 / 64
v_lshlrev_b32 v201, 0x2, v201                      // v201 = v201 * 4
v_cmp_ge_i32 s[32:33], v201, s[sgprLoopCounterL]   // check K index >= Size L
v_cndmask_b32 v[vgprValuA_X19_I0+0+0+0+0], v[vgprValuA_X19_I0+0+0+0+0], 0x0, s[32:33] // set 0 if K_idx >= sizeL
v_cndmask_b32 v[vgprValuB_X19_I0+0+0+0+0], v[vgprValuB_X19_I0+0+0+0+0], 0x0, s[32:33] // set 0 if K_idx >= sizeL
v_cndmask_b32 v[vgprValuA_X19_I0+0+0+0+1], v[vgprValuA_X19_I0+0+0+0+1], 0x0, s[32:33] // set 0 if K_idx >= sizeL
v_cndmask_b32 v[vgprValuB_X19_I0+0+0+0+1], v[vgprValuB_X19_I0+0+0+0+1], 0x0, s[32:33] // set 0 if K_idx >= sizeL
_v_sub_u32 v201, s[sgprLoopCounterL], v201         // get distance between size and k index
v_cmp_lt_i32 s[32:33], v201, 4                     // set partial 0 if distance less than input per thread
s_and_b32 s34, s[sgprLoopCounterL], 3              // get inputs for edge thread
s_sub_u32 s34, 4, s34                              // use shift to fill 0 for outside element
s_lshl_b32 s34, s34, 4                             // use shift to fill 0 for outside element
v_mov_b32 v202, -1                                 // set 0xffffffff
v_mov_b32 v203, -1                                 // set 0xffffffff
v_lshrrev_b64 v[202:203], s34, v[202:203]          // rshift mask for partial k
v_cndmask_b32 v202, -1, v202, s[32:33]             // select shifted mask for partial k
v_cndmask_b32 v203, -1, v203, s[32:33]             // select shifted mask for partial k
v_and_b32 v[vgprValuA_X19_I0+0+0+0+0], v[vgprValuA_X19_I0+0+0+0+0], v202 // 
v_and_b32 v[vgprValuA_X19_I0+0+0+0+1], v[vgprValuA_X19_I0+0+0+0+1], v203 // 
v_and_b32 v[vgprValuB_X19_I0+0+0+0+0], v[vgprValuB_X19_I0+0+0+0+0], v202 // 
v_and_b32 v[vgprValuB_X19_I0+0+0+0+1], v[vgprValuB_X19_I0+0+0+0+1], v203 // 
s_nop 1
v_mfma_f32_4x4x4bf16_1k a[0+0:3+0], v[vgprValuA_X19_I0+0+0+0:vgprValuA_X19_I0+0+0+0+1], v[vgprValuB_X19_I0+0+0+0:vgprValuB_X19_I0+0+0+0+1], a[0:3]


/* closeLoop loopL finalLoop=0 tailLoop=1 */
s_sub_i32 s[sgprLoopCounterL], s[sgprLoopCounterL], 0x4 // dec counterL (tailLoop)
s_add_u32 s[sgprOrigLoopCounter], s[sgprOrigLoopCounter], 0x4 // inc counterL
s_cmp_le_i32 s[sgprLoopCounterL], 0x0              // counterL<=0
s_cbranch_scc1 TailLoopEndL_7                      // exit LoopL


/* tail loop unroll iter 20 */


/* local read a */

_ds_load_b64 v[vgprValuA_X20_I0+0:vgprValuA_X20_I0+0+1], v[vgprLocalReadAddrA] offset:0 // L -> Reg lro=0 swapByteOffset=0 ti=128 vIdx=0 rIdx=0 oIdx=0 buffer=20 iui=0


/* local read b */

_ds_load_b64 v[vgprValuB_X20_I0+0:vgprValuB_X20_I0+0+1], v[vgprLocalReadAddrB] offset:0 // L -> Reg lro=0 swapByteOffset=0 ti=4 vIdx=0 rIdx=0 oIdx=0 buffer=20 iui=0


/* local read inc a */

s_mov_b32 s31, 0x8                                 // inc
_v_add_co_u32 v[vgprLocalReadAddrA], vcc, s31, v[vgprLocalReadAddrA] // lrA += 8 (LSU*bpe)


/* local read inc b */

s_mov_b32 s31, 0x8                                 // inc
_v_add_co_u32 v[vgprLocalReadAddrB], vcc, s31, v[vgprLocalReadAddrB] // lrB += 8 (LSU*bpe)

s_waitcnt lgkmcnt(0)                               // lgkmcnt=0 vmcnt=-14wait for local read


	;; [unrolled: 1-line block ×3, first 2 shown]
/* tail loop mfma iter 20: numReadsIterCoalescedA=1, numReadsIterCoalescedB=1 */
v_and_b32 v201, 63, v[vgprSerial]                  // v201 = v[vgprSerial] % 64
v_lshrrev_b32 v201, 6, v201                        // v201 = v201 / 64
v_lshlrev_b32 v201, 0x2, v201                      // v201 = v201 * 4
v_cmp_ge_i32 s[32:33], v201, s[sgprLoopCounterL]   // check K index >= Size L
v_cndmask_b32 v[vgprValuA_X20_I0+0+0+0+0], v[vgprValuA_X20_I0+0+0+0+0], 0x0, s[32:33] // set 0 if K_idx >= sizeL
v_cndmask_b32 v[vgprValuB_X20_I0+0+0+0+0], v[vgprValuB_X20_I0+0+0+0+0], 0x0, s[32:33] // set 0 if K_idx >= sizeL
v_cndmask_b32 v[vgprValuA_X20_I0+0+0+0+1], v[vgprValuA_X20_I0+0+0+0+1], 0x0, s[32:33] // set 0 if K_idx >= sizeL
v_cndmask_b32 v[vgprValuB_X20_I0+0+0+0+1], v[vgprValuB_X20_I0+0+0+0+1], 0x0, s[32:33] // set 0 if K_idx >= sizeL
_v_sub_u32 v201, s[sgprLoopCounterL], v201         // get distance between size and k index
v_cmp_lt_i32 s[32:33], v201, 4                     // set partial 0 if distance less than input per thread
s_and_b32 s34, s[sgprLoopCounterL], 3              // get inputs for edge thread
s_sub_u32 s34, 4, s34                              // use shift to fill 0 for outside element
s_lshl_b32 s34, s34, 4                             // use shift to fill 0 for outside element
v_mov_b32 v202, -1                                 // set 0xffffffff
v_mov_b32 v203, -1                                 // set 0xffffffff
v_lshrrev_b64 v[202:203], s34, v[202:203]          // rshift mask for partial k
v_cndmask_b32 v202, -1, v202, s[32:33]             // select shifted mask for partial k
v_cndmask_b32 v203, -1, v203, s[32:33]             // select shifted mask for partial k
v_and_b32 v[vgprValuA_X20_I0+0+0+0+0], v[vgprValuA_X20_I0+0+0+0+0], v202 // 
v_and_b32 v[vgprValuA_X20_I0+0+0+0+1], v[vgprValuA_X20_I0+0+0+0+1], v203 // 
v_and_b32 v[vgprValuB_X20_I0+0+0+0+0], v[vgprValuB_X20_I0+0+0+0+0], v202 // 
v_and_b32 v[vgprValuB_X20_I0+0+0+0+1], v[vgprValuB_X20_I0+0+0+0+1], v203 // 
s_nop 1
v_mfma_f32_4x4x4bf16_1k a[0+0:3+0], v[vgprValuA_X20_I0+0+0+0:vgprValuA_X20_I0+0+0+0+1], v[vgprValuB_X20_I0+0+0+0:vgprValuB_X20_I0+0+0+0+1], a[0:3]


/* closeLoop loopL finalLoop=0 tailLoop=1 */
s_sub_i32 s[sgprLoopCounterL], s[sgprLoopCounterL], 0x4 // dec counterL (tailLoop)
s_add_u32 s[sgprOrigLoopCounter], s[sgprOrigLoopCounter], 0x4 // inc counterL
s_cmp_le_i32 s[sgprLoopCounterL], 0x0              // counterL<=0
s_cbranch_scc1 TailLoopEndL_7                      // exit LoopL


/* tail loop unroll iter 21 */


/* local read a */

_ds_load_b64 v[vgprValuA_X21_I0+0:vgprValuA_X21_I0+0+1], v[vgprLocalReadAddrA] offset:0 // L -> Reg lro=0 swapByteOffset=0 ti=128 vIdx=0 rIdx=0 oIdx=0 buffer=21 iui=0


/* local read b */

_ds_load_b64 v[vgprValuB_X21_I0+0:vgprValuB_X21_I0+0+1], v[vgprLocalReadAddrB] offset:0 // L -> Reg lro=0 swapByteOffset=0 ti=4 vIdx=0 rIdx=0 oIdx=0 buffer=21 iui=0


/* local read inc a */

s_mov_b32 s31, 0x8                                 // inc
_v_add_co_u32 v[vgprLocalReadAddrA], vcc, s31, v[vgprLocalReadAddrA] // lrA += 8 (LSU*bpe)


/* local read inc b */

s_mov_b32 s31, 0x8                                 // inc
_v_add_co_u32 v[vgprLocalReadAddrB], vcc, s31, v[vgprLocalReadAddrB] // lrB += 8 (LSU*bpe)

s_waitcnt lgkmcnt(0)                               // lgkmcnt=0 vmcnt=-14wait for local read


	;; [unrolled: 1-line block ×3, first 2 shown]
/* tail loop mfma iter 21: numReadsIterCoalescedA=1, numReadsIterCoalescedB=1 */
v_and_b32 v201, 63, v[vgprSerial]                  // v201 = v[vgprSerial] % 64
v_lshrrev_b32 v201, 6, v201                        // v201 = v201 / 64
v_lshlrev_b32 v201, 0x2, v201                      // v201 = v201 * 4
v_cmp_ge_i32 s[32:33], v201, s[sgprLoopCounterL]   // check K index >= Size L
v_cndmask_b32 v[vgprValuA_X21_I0+0+0+0+0], v[vgprValuA_X21_I0+0+0+0+0], 0x0, s[32:33] // set 0 if K_idx >= sizeL
v_cndmask_b32 v[vgprValuB_X21_I0+0+0+0+0], v[vgprValuB_X21_I0+0+0+0+0], 0x0, s[32:33] // set 0 if K_idx >= sizeL
v_cndmask_b32 v[vgprValuA_X21_I0+0+0+0+1], v[vgprValuA_X21_I0+0+0+0+1], 0x0, s[32:33] // set 0 if K_idx >= sizeL
v_cndmask_b32 v[vgprValuB_X21_I0+0+0+0+1], v[vgprValuB_X21_I0+0+0+0+1], 0x0, s[32:33] // set 0 if K_idx >= sizeL
_v_sub_u32 v201, s[sgprLoopCounterL], v201         // get distance between size and k index
v_cmp_lt_i32 s[32:33], v201, 4                     // set partial 0 if distance less than input per thread
s_and_b32 s34, s[sgprLoopCounterL], 3              // get inputs for edge thread
s_sub_u32 s34, 4, s34                              // use shift to fill 0 for outside element
s_lshl_b32 s34, s34, 4                             // use shift to fill 0 for outside element
v_mov_b32 v202, -1                                 // set 0xffffffff
v_mov_b32 v203, -1                                 // set 0xffffffff
v_lshrrev_b64 v[202:203], s34, v[202:203]          // rshift mask for partial k
v_cndmask_b32 v202, -1, v202, s[32:33]             // select shifted mask for partial k
v_cndmask_b32 v203, -1, v203, s[32:33]             // select shifted mask for partial k
v_and_b32 v[vgprValuA_X21_I0+0+0+0+0], v[vgprValuA_X21_I0+0+0+0+0], v202 // 
v_and_b32 v[vgprValuA_X21_I0+0+0+0+1], v[vgprValuA_X21_I0+0+0+0+1], v203 // 
v_and_b32 v[vgprValuB_X21_I0+0+0+0+0], v[vgprValuB_X21_I0+0+0+0+0], v202 // 
v_and_b32 v[vgprValuB_X21_I0+0+0+0+1], v[vgprValuB_X21_I0+0+0+0+1], v203 // 
s_nop 1
v_mfma_f32_4x4x4bf16_1k a[0+0:3+0], v[vgprValuA_X21_I0+0+0+0:vgprValuA_X21_I0+0+0+0+1], v[vgprValuB_X21_I0+0+0+0:vgprValuB_X21_I0+0+0+0+1], a[0:3]


/* closeLoop loopL finalLoop=0 tailLoop=1 */
s_sub_i32 s[sgprLoopCounterL], s[sgprLoopCounterL], 0x4 // dec counterL (tailLoop)
s_add_u32 s[sgprOrigLoopCounter], s[sgprOrigLoopCounter], 0x4 // inc counterL
s_cmp_le_i32 s[sgprLoopCounterL], 0x0              // counterL<=0
s_cbranch_scc1 TailLoopEndL_7                      // exit LoopL


/* tail loop unroll iter 22 */


/* local read a */

_ds_load_b64 v[vgprValuA_X22_I0+0:vgprValuA_X22_I0+0+1], v[vgprLocalReadAddrA] offset:0 // L -> Reg lro=0 swapByteOffset=0 ti=128 vIdx=0 rIdx=0 oIdx=0 buffer=22 iui=0


/* local read b */

_ds_load_b64 v[vgprValuB_X22_I0+0:vgprValuB_X22_I0+0+1], v[vgprLocalReadAddrB] offset:0 // L -> Reg lro=0 swapByteOffset=0 ti=4 vIdx=0 rIdx=0 oIdx=0 buffer=22 iui=0


/* local read inc a */

s_mov_b32 s31, 0x8                                 // inc
_v_add_co_u32 v[vgprLocalReadAddrA], vcc, s31, v[vgprLocalReadAddrA] // lrA += 8 (LSU*bpe)


/* local read inc b */

s_mov_b32 s31, 0x8                                 // inc
_v_add_co_u32 v[vgprLocalReadAddrB], vcc, s31, v[vgprLocalReadAddrB] // lrB += 8 (LSU*bpe)

s_waitcnt lgkmcnt(0)                               // lgkmcnt=0 vmcnt=-14wait for local read



/* tail loop mfma iter 22: numReadsIterCoalescedA=1, numReadsIterCoalescedB=1 */
v_and_b32 v201, 63, v[vgprSerial]                  // v201 = v[vgprSerial] % 64
v_lshrrev_b32 v201, 6, v201                        // v201 = v201 / 64
v_lshlrev_b32 v201, 0x2, v201                      // v201 = v201 * 4
v_cmp_ge_i32 s[32:33], v201, s[sgprLoopCounterL]   // check K index >= Size L
v_cndmask_b32 v[vgprValuA_X22_I0+0+0+0+0], v[vgprValuA_X22_I0+0+0+0+0], 0x0, s[32:33] // set 0 if K_idx >= sizeL
v_cndmask_b32 v[vgprValuB_X22_I0+0+0+0+0], v[vgprValuB_X22_I0+0+0+0+0], 0x0, s[32:33] // set 0 if K_idx >= sizeL
v_cndmask_b32 v[vgprValuA_X22_I0+0+0+0+1], v[vgprValuA_X22_I0+0+0+0+1], 0x0, s[32:33] // set 0 if K_idx >= sizeL
v_cndmask_b32 v[vgprValuB_X22_I0+0+0+0+1], v[vgprValuB_X22_I0+0+0+0+1], 0x0, s[32:33] // set 0 if K_idx >= sizeL
_v_sub_u32 v201, s[sgprLoopCounterL], v201         // get distance between size and k index
v_cmp_lt_i32 s[32:33], v201, 4                     // set partial 0 if distance less than input per thread
s_and_b32 s34, s[sgprLoopCounterL], 3              // get inputs for edge thread
s_sub_u32 s34, 4, s34                              // use shift to fill 0 for outside element
s_lshl_b32 s34, s34, 4                             // use shift to fill 0 for outside element
v_mov_b32 v202, -1                                 // set 0xffffffff
v_mov_b32 v203, -1                                 // set 0xffffffff
v_lshrrev_b64 v[202:203], s34, v[202:203]          // rshift mask for partial k
v_cndmask_b32 v202, -1, v202, s[32:33]             // select shifted mask for partial k
v_cndmask_b32 v203, -1, v203, s[32:33]             // select shifted mask for partial k
v_and_b32 v[vgprValuA_X22_I0+0+0+0+0], v[vgprValuA_X22_I0+0+0+0+0], v202 // 
v_and_b32 v[vgprValuA_X22_I0+0+0+0+1], v[vgprValuA_X22_I0+0+0+0+1], v203 // 
v_and_b32 v[vgprValuB_X22_I0+0+0+0+0], v[vgprValuB_X22_I0+0+0+0+0], v202 // 
v_and_b32 v[vgprValuB_X22_I0+0+0+0+1], v[vgprValuB_X22_I0+0+0+0+1], v203 // 
s_nop 1
v_mfma_f32_4x4x4bf16_1k a[0+0:3+0], v[vgprValuA_X22_I0+0+0+0:vgprValuA_X22_I0+0+0+0+1], v[vgprValuB_X22_I0+0+0+0:vgprValuB_X22_I0+0+0+0+1], a[0:3]


/* closeLoop loopL finalLoop=0 tailLoop=1 */
s_sub_i32 s[sgprLoopCounterL], s[sgprLoopCounterL], 0x4 // dec counterL (tailLoop)
s_add_u32 s[sgprOrigLoopCounter], s[sgprOrigLoopCounter], 0x4 // inc counterL
s_cmp_le_i32 s[sgprLoopCounterL], 0x0              // counterL<=0
s_cbranch_scc1 TailLoopEndL_7                      // exit LoopL


/* tail loop unroll iter 23 */


/* local read a */

_ds_load_b64 v[vgprValuA_X23_I0+0:vgprValuA_X23_I0+0+1], v[vgprLocalReadAddrA] offset:0 // L -> Reg lro=0 swapByteOffset=0 ti=128 vIdx=0 rIdx=0 oIdx=0 buffer=23 iui=0


/* local read b */

_ds_load_b64 v[vgprValuB_X23_I0+0:vgprValuB_X23_I0+0+1], v[vgprLocalReadAddrB] offset:0 // L -> Reg lro=0 swapByteOffset=0 ti=4 vIdx=0 rIdx=0 oIdx=0 buffer=23 iui=0


/* local read inc a */

s_mov_b32 s31, 0x8                                 // inc
_v_add_co_u32 v[vgprLocalReadAddrA], vcc, s31, v[vgprLocalReadAddrA] // lrA += 8 (LSU*bpe)


/* local read inc b */

s_mov_b32 s31, 0x8                                 // inc
_v_add_co_u32 v[vgprLocalReadAddrB], vcc, s31, v[vgprLocalReadAddrB] // lrB += 8 (LSU*bpe)

s_waitcnt lgkmcnt(0)                               // lgkmcnt=0 vmcnt=-14wait for local read


	;; [unrolled: 1-line block ×3, first 2 shown]
/* tail loop mfma iter 23: numReadsIterCoalescedA=1, numReadsIterCoalescedB=1 */
v_and_b32 v201, 63, v[vgprSerial]                  // v201 = v[vgprSerial] % 64
v_lshrrev_b32 v201, 6, v201                        // v201 = v201 / 64
v_lshlrev_b32 v201, 0x2, v201                      // v201 = v201 * 4
v_cmp_ge_i32 s[32:33], v201, s[sgprLoopCounterL]   // check K index >= Size L
v_cndmask_b32 v[vgprValuA_X23_I0+0+0+0+0], v[vgprValuA_X23_I0+0+0+0+0], 0x0, s[32:33] // set 0 if K_idx >= sizeL
v_cndmask_b32 v[vgprValuB_X23_I0+0+0+0+0], v[vgprValuB_X23_I0+0+0+0+0], 0x0, s[32:33] // set 0 if K_idx >= sizeL
v_cndmask_b32 v[vgprValuA_X23_I0+0+0+0+1], v[vgprValuA_X23_I0+0+0+0+1], 0x0, s[32:33] // set 0 if K_idx >= sizeL
v_cndmask_b32 v[vgprValuB_X23_I0+0+0+0+1], v[vgprValuB_X23_I0+0+0+0+1], 0x0, s[32:33] // set 0 if K_idx >= sizeL
_v_sub_u32 v201, s[sgprLoopCounterL], v201         // get distance between size and k index
v_cmp_lt_i32 s[32:33], v201, 4                     // set partial 0 if distance less than input per thread
s_and_b32 s34, s[sgprLoopCounterL], 3              // get inputs for edge thread
s_sub_u32 s34, 4, s34                              // use shift to fill 0 for outside element
s_lshl_b32 s34, s34, 4                             // use shift to fill 0 for outside element
v_mov_b32 v202, -1                                 // set 0xffffffff
v_mov_b32 v203, -1                                 // set 0xffffffff
v_lshrrev_b64 v[202:203], s34, v[202:203]          // rshift mask for partial k
v_cndmask_b32 v202, -1, v202, s[32:33]             // select shifted mask for partial k
v_cndmask_b32 v203, -1, v203, s[32:33]             // select shifted mask for partial k
v_and_b32 v[vgprValuA_X23_I0+0+0+0+0], v[vgprValuA_X23_I0+0+0+0+0], v202 // 
v_and_b32 v[vgprValuA_X23_I0+0+0+0+1], v[vgprValuA_X23_I0+0+0+0+1], v203 // 
v_and_b32 v[vgprValuB_X23_I0+0+0+0+0], v[vgprValuB_X23_I0+0+0+0+0], v202 // 
v_and_b32 v[vgprValuB_X23_I0+0+0+0+1], v[vgprValuB_X23_I0+0+0+0+1], v203 // 
s_nop 1
v_mfma_f32_4x4x4bf16_1k a[0+0:3+0], v[vgprValuA_X23_I0+0+0+0:vgprValuA_X23_I0+0+0+0+1], v[vgprValuB_X23_I0+0+0+0:vgprValuB_X23_I0+0+0+0+1], a[0:3]


/* closeLoop loopL finalLoop=0 tailLoop=1 */
s_sub_i32 s[sgprLoopCounterL], s[sgprLoopCounterL], 0x4 // dec counterL (tailLoop)
s_add_u32 s[sgprOrigLoopCounter], s[sgprOrigLoopCounter], 0x4 // inc counterL
s_cmp_le_i32 s[sgprLoopCounterL], 0x0              // counterL<=0
s_cbranch_scc1 TailLoopEndL_7                      // exit LoopL


/* tail loop unroll iter 24 */


/* local read a */

_ds_load_b64 v[vgprValuA_X24_I0+0:vgprValuA_X24_I0+0+1], v[vgprLocalReadAddrA] offset:0 // L -> Reg lro=0 swapByteOffset=0 ti=128 vIdx=0 rIdx=0 oIdx=0 buffer=24 iui=0


/* local read b */

_ds_load_b64 v[vgprValuB_X24_I0+0:vgprValuB_X24_I0+0+1], v[vgprLocalReadAddrB] offset:0 // L -> Reg lro=0 swapByteOffset=0 ti=4 vIdx=0 rIdx=0 oIdx=0 buffer=24 iui=0


/* local read inc a */

s_mov_b32 s31, 0x8                                 // inc
_v_add_co_u32 v[vgprLocalReadAddrA], vcc, s31, v[vgprLocalReadAddrA] // lrA += 8 (LSU*bpe)


/* local read inc b */

s_mov_b32 s31, 0x8                                 // inc
_v_add_co_u32 v[vgprLocalReadAddrB], vcc, s31, v[vgprLocalReadAddrB] // lrB += 8 (LSU*bpe)

s_waitcnt lgkmcnt(0)                               // lgkmcnt=0 vmcnt=-14wait for local read


	;; [unrolled: 1-line block ×3, first 2 shown]
/* tail loop mfma iter 24: numReadsIterCoalescedA=1, numReadsIterCoalescedB=1 */
v_and_b32 v201, 63, v[vgprSerial]                  // v201 = v[vgprSerial] % 64
v_lshrrev_b32 v201, 6, v201                        // v201 = v201 / 64
v_lshlrev_b32 v201, 0x2, v201                      // v201 = v201 * 4
v_cmp_ge_i32 s[32:33], v201, s[sgprLoopCounterL]   // check K index >= Size L
v_cndmask_b32 v[vgprValuA_X24_I0+0+0+0+0], v[vgprValuA_X24_I0+0+0+0+0], 0x0, s[32:33] // set 0 if K_idx >= sizeL
v_cndmask_b32 v[vgprValuB_X24_I0+0+0+0+0], v[vgprValuB_X24_I0+0+0+0+0], 0x0, s[32:33] // set 0 if K_idx >= sizeL
v_cndmask_b32 v[vgprValuA_X24_I0+0+0+0+1], v[vgprValuA_X24_I0+0+0+0+1], 0x0, s[32:33] // set 0 if K_idx >= sizeL
v_cndmask_b32 v[vgprValuB_X24_I0+0+0+0+1], v[vgprValuB_X24_I0+0+0+0+1], 0x0, s[32:33] // set 0 if K_idx >= sizeL
_v_sub_u32 v201, s[sgprLoopCounterL], v201         // get distance between size and k index
v_cmp_lt_i32 s[32:33], v201, 4                     // set partial 0 if distance less than input per thread
s_and_b32 s34, s[sgprLoopCounterL], 3              // get inputs for edge thread
s_sub_u32 s34, 4, s34                              // use shift to fill 0 for outside element
s_lshl_b32 s34, s34, 4                             // use shift to fill 0 for outside element
v_mov_b32 v202, -1                                 // set 0xffffffff
v_mov_b32 v203, -1                                 // set 0xffffffff
v_lshrrev_b64 v[202:203], s34, v[202:203]          // rshift mask for partial k
v_cndmask_b32 v202, -1, v202, s[32:33]             // select shifted mask for partial k
v_cndmask_b32 v203, -1, v203, s[32:33]             // select shifted mask for partial k
v_and_b32 v[vgprValuA_X24_I0+0+0+0+0], v[vgprValuA_X24_I0+0+0+0+0], v202 // 
v_and_b32 v[vgprValuA_X24_I0+0+0+0+1], v[vgprValuA_X24_I0+0+0+0+1], v203 // 
v_and_b32 v[vgprValuB_X24_I0+0+0+0+0], v[vgprValuB_X24_I0+0+0+0+0], v202 // 
v_and_b32 v[vgprValuB_X24_I0+0+0+0+1], v[vgprValuB_X24_I0+0+0+0+1], v203 // 
s_nop 1
v_mfma_f32_4x4x4bf16_1k a[0+0:3+0], v[vgprValuA_X24_I0+0+0+0:vgprValuA_X24_I0+0+0+0+1], v[vgprValuB_X24_I0+0+0+0:vgprValuB_X24_I0+0+0+0+1], a[0:3]


/* closeLoop loopL finalLoop=0 tailLoop=1 */
s_sub_i32 s[sgprLoopCounterL], s[sgprLoopCounterL], 0x4 // dec counterL (tailLoop)
s_add_u32 s[sgprOrigLoopCounter], s[sgprOrigLoopCounter], 0x4 // inc counterL
s_cmp_le_i32 s[sgprLoopCounterL], 0x0              // counterL<=0
s_cbranch_scc1 TailLoopEndL_7                      // exit LoopL


/* tail loop unroll iter 25 */


/* local read a */

_ds_load_b64 v[vgprValuA_X25_I0+0:vgprValuA_X25_I0+0+1], v[vgprLocalReadAddrA] offset:0 // L -> Reg lro=0 swapByteOffset=0 ti=128 vIdx=0 rIdx=0 oIdx=0 buffer=25 iui=0


/* local read b */

_ds_load_b64 v[vgprValuB_X25_I0+0:vgprValuB_X25_I0+0+1], v[vgprLocalReadAddrB] offset:0 // L -> Reg lro=0 swapByteOffset=0 ti=4 vIdx=0 rIdx=0 oIdx=0 buffer=25 iui=0


/* local read inc a */

s_mov_b32 s31, 0x8                                 // inc
_v_add_co_u32 v[vgprLocalReadAddrA], vcc, s31, v[vgprLocalReadAddrA] // lrA += 8 (LSU*bpe)


/* local read inc b */

s_mov_b32 s31, 0x8                                 // inc
_v_add_co_u32 v[vgprLocalReadAddrB], vcc, s31, v[vgprLocalReadAddrB] // lrB += 8 (LSU*bpe)

s_waitcnt lgkmcnt(0)                               // lgkmcnt=0 vmcnt=-14wait for local read


	;; [unrolled: 1-line block ×3, first 2 shown]
/* tail loop mfma iter 25: numReadsIterCoalescedA=1, numReadsIterCoalescedB=1 */
v_and_b32 v201, 63, v[vgprSerial]                  // v201 = v[vgprSerial] % 64
v_lshrrev_b32 v201, 6, v201                        // v201 = v201 / 64
v_lshlrev_b32 v201, 0x2, v201                      // v201 = v201 * 4
v_cmp_ge_i32 s[32:33], v201, s[sgprLoopCounterL]   // check K index >= Size L
v_cndmask_b32 v[vgprValuA_X25_I0+0+0+0+0], v[vgprValuA_X25_I0+0+0+0+0], 0x0, s[32:33] // set 0 if K_idx >= sizeL
v_cndmask_b32 v[vgprValuB_X25_I0+0+0+0+0], v[vgprValuB_X25_I0+0+0+0+0], 0x0, s[32:33] // set 0 if K_idx >= sizeL
v_cndmask_b32 v[vgprValuA_X25_I0+0+0+0+1], v[vgprValuA_X25_I0+0+0+0+1], 0x0, s[32:33] // set 0 if K_idx >= sizeL
v_cndmask_b32 v[vgprValuB_X25_I0+0+0+0+1], v[vgprValuB_X25_I0+0+0+0+1], 0x0, s[32:33] // set 0 if K_idx >= sizeL
_v_sub_u32 v201, s[sgprLoopCounterL], v201         // get distance between size and k index
v_cmp_lt_i32 s[32:33], v201, 4                     // set partial 0 if distance less than input per thread
s_and_b32 s34, s[sgprLoopCounterL], 3              // get inputs for edge thread
s_sub_u32 s34, 4, s34                              // use shift to fill 0 for outside element
s_lshl_b32 s34, s34, 4                             // use shift to fill 0 for outside element
v_mov_b32 v202, -1                                 // set 0xffffffff
v_mov_b32 v203, -1                                 // set 0xffffffff
v_lshrrev_b64 v[202:203], s34, v[202:203]          // rshift mask for partial k
v_cndmask_b32 v202, -1, v202, s[32:33]             // select shifted mask for partial k
v_cndmask_b32 v203, -1, v203, s[32:33]             // select shifted mask for partial k
v_and_b32 v[vgprValuA_X25_I0+0+0+0+0], v[vgprValuA_X25_I0+0+0+0+0], v202 // 
v_and_b32 v[vgprValuA_X25_I0+0+0+0+1], v[vgprValuA_X25_I0+0+0+0+1], v203 // 
v_and_b32 v[vgprValuB_X25_I0+0+0+0+0], v[vgprValuB_X25_I0+0+0+0+0], v202 // 
v_and_b32 v[vgprValuB_X25_I0+0+0+0+1], v[vgprValuB_X25_I0+0+0+0+1], v203 // 
s_nop 1
v_mfma_f32_4x4x4bf16_1k a[0+0:3+0], v[vgprValuA_X25_I0+0+0+0:vgprValuA_X25_I0+0+0+0+1], v[vgprValuB_X25_I0+0+0+0:vgprValuB_X25_I0+0+0+0+1], a[0:3]


/* closeLoop loopL finalLoop=0 tailLoop=1 */
s_sub_i32 s[sgprLoopCounterL], s[sgprLoopCounterL], 0x4 // dec counterL (tailLoop)
s_add_u32 s[sgprOrigLoopCounter], s[sgprOrigLoopCounter], 0x4 // inc counterL
s_cmp_le_i32 s[sgprLoopCounterL], 0x0              // counterL<=0
s_cbranch_scc1 TailLoopEndL_7                      // exit LoopL


/* tail loop unroll iter 26 */


/* local read a */

_ds_load_b64 v[vgprValuA_X26_I0+0:vgprValuA_X26_I0+0+1], v[vgprLocalReadAddrA] offset:0 // L -> Reg lro=0 swapByteOffset=0 ti=128 vIdx=0 rIdx=0 oIdx=0 buffer=26 iui=0


/* local read b */

_ds_load_b64 v[vgprValuB_X26_I0+0:vgprValuB_X26_I0+0+1], v[vgprLocalReadAddrB] offset:0 // L -> Reg lro=0 swapByteOffset=0 ti=4 vIdx=0 rIdx=0 oIdx=0 buffer=26 iui=0


/* local read inc a */

s_mov_b32 s31, 0x8                                 // inc
_v_add_co_u32 v[vgprLocalReadAddrA], vcc, s31, v[vgprLocalReadAddrA] // lrA += 8 (LSU*bpe)


/* local read inc b */

s_mov_b32 s31, 0x8                                 // inc
_v_add_co_u32 v[vgprLocalReadAddrB], vcc, s31, v[vgprLocalReadAddrB] // lrB += 8 (LSU*bpe)

s_waitcnt lgkmcnt(0)                               // lgkmcnt=0 vmcnt=-14wait for local read


	;; [unrolled: 1-line block ×3, first 2 shown]
/* tail loop mfma iter 26: numReadsIterCoalescedA=1, numReadsIterCoalescedB=1 */
v_and_b32 v201, 63, v[vgprSerial]                  // v201 = v[vgprSerial] % 64
v_lshrrev_b32 v201, 6, v201                        // v201 = v201 / 64
v_lshlrev_b32 v201, 0x2, v201                      // v201 = v201 * 4
v_cmp_ge_i32 s[32:33], v201, s[sgprLoopCounterL]   // check K index >= Size L
v_cndmask_b32 v[vgprValuA_X26_I0+0+0+0+0], v[vgprValuA_X26_I0+0+0+0+0], 0x0, s[32:33] // set 0 if K_idx >= sizeL
v_cndmask_b32 v[vgprValuB_X26_I0+0+0+0+0], v[vgprValuB_X26_I0+0+0+0+0], 0x0, s[32:33] // set 0 if K_idx >= sizeL
v_cndmask_b32 v[vgprValuA_X26_I0+0+0+0+1], v[vgprValuA_X26_I0+0+0+0+1], 0x0, s[32:33] // set 0 if K_idx >= sizeL
v_cndmask_b32 v[vgprValuB_X26_I0+0+0+0+1], v[vgprValuB_X26_I0+0+0+0+1], 0x0, s[32:33] // set 0 if K_idx >= sizeL
_v_sub_u32 v201, s[sgprLoopCounterL], v201         // get distance between size and k index
v_cmp_lt_i32 s[32:33], v201, 4                     // set partial 0 if distance less than input per thread
s_and_b32 s34, s[sgprLoopCounterL], 3              // get inputs for edge thread
s_sub_u32 s34, 4, s34                              // use shift to fill 0 for outside element
s_lshl_b32 s34, s34, 4                             // use shift to fill 0 for outside element
v_mov_b32 v202, -1                                 // set 0xffffffff
v_mov_b32 v203, -1                                 // set 0xffffffff
v_lshrrev_b64 v[202:203], s34, v[202:203]          // rshift mask for partial k
v_cndmask_b32 v202, -1, v202, s[32:33]             // select shifted mask for partial k
v_cndmask_b32 v203, -1, v203, s[32:33]             // select shifted mask for partial k
v_and_b32 v[vgprValuA_X26_I0+0+0+0+0], v[vgprValuA_X26_I0+0+0+0+0], v202 // 
v_and_b32 v[vgprValuA_X26_I0+0+0+0+1], v[vgprValuA_X26_I0+0+0+0+1], v203 // 
v_and_b32 v[vgprValuB_X26_I0+0+0+0+0], v[vgprValuB_X26_I0+0+0+0+0], v202 // 
v_and_b32 v[vgprValuB_X26_I0+0+0+0+1], v[vgprValuB_X26_I0+0+0+0+1], v203 // 
s_nop 1
v_mfma_f32_4x4x4bf16_1k a[0+0:3+0], v[vgprValuA_X26_I0+0+0+0:vgprValuA_X26_I0+0+0+0+1], v[vgprValuB_X26_I0+0+0+0:vgprValuB_X26_I0+0+0+0+1], a[0:3]


/* closeLoop loopL finalLoop=0 tailLoop=1 */
s_sub_i32 s[sgprLoopCounterL], s[sgprLoopCounterL], 0x4 // dec counterL (tailLoop)
s_add_u32 s[sgprOrigLoopCounter], s[sgprOrigLoopCounter], 0x4 // inc counterL
s_cmp_le_i32 s[sgprLoopCounterL], 0x0              // counterL<=0
s_cbranch_scc1 TailLoopEndL_7                      // exit LoopL


/* tail loop unroll iter 27 */


/* local read a */

_ds_load_b64 v[vgprValuA_X27_I0+0:vgprValuA_X27_I0+0+1], v[vgprLocalReadAddrA] offset:0 // L -> Reg lro=0 swapByteOffset=0 ti=128 vIdx=0 rIdx=0 oIdx=0 buffer=27 iui=0


/* local read b */

_ds_load_b64 v[vgprValuB_X27_I0+0:vgprValuB_X27_I0+0+1], v[vgprLocalReadAddrB] offset:0 // L -> Reg lro=0 swapByteOffset=0 ti=4 vIdx=0 rIdx=0 oIdx=0 buffer=27 iui=0


/* local read inc a */

s_mov_b32 s31, 0x8                                 // inc
_v_add_co_u32 v[vgprLocalReadAddrA], vcc, s31, v[vgprLocalReadAddrA] // lrA += 8 (LSU*bpe)


/* local read inc b */

s_mov_b32 s31, 0x8                                 // inc
_v_add_co_u32 v[vgprLocalReadAddrB], vcc, s31, v[vgprLocalReadAddrB] // lrB += 8 (LSU*bpe)

s_waitcnt lgkmcnt(0)                               // lgkmcnt=0 vmcnt=-14wait for local read



/* tail loop mfma iter 27: numReadsIterCoalescedA=1, numReadsIterCoalescedB=1 */
v_and_b32 v201, 63, v[vgprSerial]                  // v201 = v[vgprSerial] % 64
v_lshrrev_b32 v201, 6, v201                        // v201 = v201 / 64
v_lshlrev_b32 v201, 0x2, v201                      // v201 = v201 * 4
v_cmp_ge_i32 s[32:33], v201, s[sgprLoopCounterL]   // check K index >= Size L
v_cndmask_b32 v[vgprValuA_X27_I0+0+0+0+0], v[vgprValuA_X27_I0+0+0+0+0], 0x0, s[32:33] // set 0 if K_idx >= sizeL
v_cndmask_b32 v[vgprValuB_X27_I0+0+0+0+0], v[vgprValuB_X27_I0+0+0+0+0], 0x0, s[32:33] // set 0 if K_idx >= sizeL
v_cndmask_b32 v[vgprValuA_X27_I0+0+0+0+1], v[vgprValuA_X27_I0+0+0+0+1], 0x0, s[32:33] // set 0 if K_idx >= sizeL
v_cndmask_b32 v[vgprValuB_X27_I0+0+0+0+1], v[vgprValuB_X27_I0+0+0+0+1], 0x0, s[32:33] // set 0 if K_idx >= sizeL
_v_sub_u32 v201, s[sgprLoopCounterL], v201         // get distance between size and k index
v_cmp_lt_i32 s[32:33], v201, 4                     // set partial 0 if distance less than input per thread
s_and_b32 s34, s[sgprLoopCounterL], 3              // get inputs for edge thread
s_sub_u32 s34, 4, s34                              // use shift to fill 0 for outside element
s_lshl_b32 s34, s34, 4                             // use shift to fill 0 for outside element
v_mov_b32 v202, -1                                 // set 0xffffffff
v_mov_b32 v203, -1                                 // set 0xffffffff
v_lshrrev_b64 v[202:203], s34, v[202:203]          // rshift mask for partial k
v_cndmask_b32 v202, -1, v202, s[32:33]             // select shifted mask for partial k
v_cndmask_b32 v203, -1, v203, s[32:33]             // select shifted mask for partial k
v_and_b32 v[vgprValuA_X27_I0+0+0+0+0], v[vgprValuA_X27_I0+0+0+0+0], v202 // 
v_and_b32 v[vgprValuA_X27_I0+0+0+0+1], v[vgprValuA_X27_I0+0+0+0+1], v203 // 
v_and_b32 v[vgprValuB_X27_I0+0+0+0+0], v[vgprValuB_X27_I0+0+0+0+0], v202 // 
v_and_b32 v[vgprValuB_X27_I0+0+0+0+1], v[vgprValuB_X27_I0+0+0+0+1], v203 // 
s_nop 1
v_mfma_f32_4x4x4bf16_1k a[0+0:3+0], v[vgprValuA_X27_I0+0+0+0:vgprValuA_X27_I0+0+0+0+1], v[vgprValuB_X27_I0+0+0+0:vgprValuB_X27_I0+0+0+0+1], a[0:3]


/* closeLoop loopL finalLoop=0 tailLoop=1 */
s_sub_i32 s[sgprLoopCounterL], s[sgprLoopCounterL], 0x4 // dec counterL (tailLoop)
s_add_u32 s[sgprOrigLoopCounter], s[sgprOrigLoopCounter], 0x4 // inc counterL
s_cmp_le_i32 s[sgprLoopCounterL], 0x0              // counterL<=0
s_cbranch_scc1 TailLoopEndL_7                      // exit LoopL


/* tail loop unroll iter 28 */


/* local read a */

_ds_load_b64 v[vgprValuA_X28_I0+0:vgprValuA_X28_I0+0+1], v[vgprLocalReadAddrA] offset:0 // L -> Reg lro=0 swapByteOffset=0 ti=128 vIdx=0 rIdx=0 oIdx=0 buffer=28 iui=0


/* local read b */

_ds_load_b64 v[vgprValuB_X28_I0+0:vgprValuB_X28_I0+0+1], v[vgprLocalReadAddrB] offset:0 // L -> Reg lro=0 swapByteOffset=0 ti=4 vIdx=0 rIdx=0 oIdx=0 buffer=28 iui=0


/* local read inc a */

s_mov_b32 s31, 0x8                                 // inc
_v_add_co_u32 v[vgprLocalReadAddrA], vcc, s31, v[vgprLocalReadAddrA] // lrA += 8 (LSU*bpe)


/* local read inc b */

s_mov_b32 s31, 0x8                                 // inc
_v_add_co_u32 v[vgprLocalReadAddrB], vcc, s31, v[vgprLocalReadAddrB] // lrB += 8 (LSU*bpe)

s_waitcnt lgkmcnt(0)                               // lgkmcnt=0 vmcnt=-14wait for local read


	;; [unrolled: 1-line block ×3, first 2 shown]
/* tail loop mfma iter 28: numReadsIterCoalescedA=1, numReadsIterCoalescedB=1 */
v_and_b32 v201, 63, v[vgprSerial]                  // v201 = v[vgprSerial] % 64
v_lshrrev_b32 v201, 6, v201                        // v201 = v201 / 64
v_lshlrev_b32 v201, 0x2, v201                      // v201 = v201 * 4
v_cmp_ge_i32 s[32:33], v201, s[sgprLoopCounterL]   // check K index >= Size L
v_cndmask_b32 v[vgprValuA_X28_I0+0+0+0+0], v[vgprValuA_X28_I0+0+0+0+0], 0x0, s[32:33] // set 0 if K_idx >= sizeL
v_cndmask_b32 v[vgprValuB_X28_I0+0+0+0+0], v[vgprValuB_X28_I0+0+0+0+0], 0x0, s[32:33] // set 0 if K_idx >= sizeL
v_cndmask_b32 v[vgprValuA_X28_I0+0+0+0+1], v[vgprValuA_X28_I0+0+0+0+1], 0x0, s[32:33] // set 0 if K_idx >= sizeL
v_cndmask_b32 v[vgprValuB_X28_I0+0+0+0+1], v[vgprValuB_X28_I0+0+0+0+1], 0x0, s[32:33] // set 0 if K_idx >= sizeL
_v_sub_u32 v201, s[sgprLoopCounterL], v201         // get distance between size and k index
v_cmp_lt_i32 s[32:33], v201, 4                     // set partial 0 if distance less than input per thread
s_and_b32 s34, s[sgprLoopCounterL], 3              // get inputs for edge thread
s_sub_u32 s34, 4, s34                              // use shift to fill 0 for outside element
s_lshl_b32 s34, s34, 4                             // use shift to fill 0 for outside element
v_mov_b32 v202, -1                                 // set 0xffffffff
v_mov_b32 v203, -1                                 // set 0xffffffff
v_lshrrev_b64 v[202:203], s34, v[202:203]          // rshift mask for partial k
v_cndmask_b32 v202, -1, v202, s[32:33]             // select shifted mask for partial k
v_cndmask_b32 v203, -1, v203, s[32:33]             // select shifted mask for partial k
v_and_b32 v[vgprValuA_X28_I0+0+0+0+0], v[vgprValuA_X28_I0+0+0+0+0], v202 // 
v_and_b32 v[vgprValuA_X28_I0+0+0+0+1], v[vgprValuA_X28_I0+0+0+0+1], v203 // 
v_and_b32 v[vgprValuB_X28_I0+0+0+0+0], v[vgprValuB_X28_I0+0+0+0+0], v202 // 
v_and_b32 v[vgprValuB_X28_I0+0+0+0+1], v[vgprValuB_X28_I0+0+0+0+1], v203 // 
s_nop 1
v_mfma_f32_4x4x4bf16_1k a[0+0:3+0], v[vgprValuA_X28_I0+0+0+0:vgprValuA_X28_I0+0+0+0+1], v[vgprValuB_X28_I0+0+0+0:vgprValuB_X28_I0+0+0+0+1], a[0:3]


/* closeLoop loopL finalLoop=0 tailLoop=1 */
s_sub_i32 s[sgprLoopCounterL], s[sgprLoopCounterL], 0x4 // dec counterL (tailLoop)
s_add_u32 s[sgprOrigLoopCounter], s[sgprOrigLoopCounter], 0x4 // inc counterL
s_cmp_le_i32 s[sgprLoopCounterL], 0x0              // counterL<=0
s_cbranch_scc1 TailLoopEndL_7                      // exit LoopL


/* tail loop unroll iter 29 */


/* local read a */

_ds_load_b64 v[vgprValuA_X29_I0+0:vgprValuA_X29_I0+0+1], v[vgprLocalReadAddrA] offset:0 // L -> Reg lro=0 swapByteOffset=0 ti=128 vIdx=0 rIdx=0 oIdx=0 buffer=29 iui=0


/* local read b */

_ds_load_b64 v[vgprValuB_X29_I0+0:vgprValuB_X29_I0+0+1], v[vgprLocalReadAddrB] offset:0 // L -> Reg lro=0 swapByteOffset=0 ti=4 vIdx=0 rIdx=0 oIdx=0 buffer=29 iui=0


/* local read inc a */

s_mov_b32 s31, 0x8                                 // inc
_v_add_co_u32 v[vgprLocalReadAddrA], vcc, s31, v[vgprLocalReadAddrA] // lrA += 8 (LSU*bpe)


/* local read inc b */

s_mov_b32 s31, 0x8                                 // inc
_v_add_co_u32 v[vgprLocalReadAddrB], vcc, s31, v[vgprLocalReadAddrB] // lrB += 8 (LSU*bpe)

s_waitcnt lgkmcnt(0)                               // lgkmcnt=0 vmcnt=-14wait for local read


	;; [unrolled: 1-line block ×3, first 2 shown]
/* tail loop mfma iter 29: numReadsIterCoalescedA=1, numReadsIterCoalescedB=1 */
v_and_b32 v201, 63, v[vgprSerial]                  // v201 = v[vgprSerial] % 64
v_lshrrev_b32 v201, 6, v201                        // v201 = v201 / 64
v_lshlrev_b32 v201, 0x2, v201                      // v201 = v201 * 4
v_cmp_ge_i32 s[32:33], v201, s[sgprLoopCounterL]   // check K index >= Size L
v_cndmask_b32 v[vgprValuA_X29_I0+0+0+0+0], v[vgprValuA_X29_I0+0+0+0+0], 0x0, s[32:33] // set 0 if K_idx >= sizeL
v_cndmask_b32 v[vgprValuB_X29_I0+0+0+0+0], v[vgprValuB_X29_I0+0+0+0+0], 0x0, s[32:33] // set 0 if K_idx >= sizeL
v_cndmask_b32 v[vgprValuA_X29_I0+0+0+0+1], v[vgprValuA_X29_I0+0+0+0+1], 0x0, s[32:33] // set 0 if K_idx >= sizeL
v_cndmask_b32 v[vgprValuB_X29_I0+0+0+0+1], v[vgprValuB_X29_I0+0+0+0+1], 0x0, s[32:33] // set 0 if K_idx >= sizeL
_v_sub_u32 v201, s[sgprLoopCounterL], v201         // get distance between size and k index
v_cmp_lt_i32 s[32:33], v201, 4                     // set partial 0 if distance less than input per thread
s_and_b32 s34, s[sgprLoopCounterL], 3              // get inputs for edge thread
s_sub_u32 s34, 4, s34                              // use shift to fill 0 for outside element
s_lshl_b32 s34, s34, 4                             // use shift to fill 0 for outside element
v_mov_b32 v202, -1                                 // set 0xffffffff
v_mov_b32 v203, -1                                 // set 0xffffffff
v_lshrrev_b64 v[202:203], s34, v[202:203]          // rshift mask for partial k
v_cndmask_b32 v202, -1, v202, s[32:33]             // select shifted mask for partial k
v_cndmask_b32 v203, -1, v203, s[32:33]             // select shifted mask for partial k
v_and_b32 v[vgprValuA_X29_I0+0+0+0+0], v[vgprValuA_X29_I0+0+0+0+0], v202 // 
v_and_b32 v[vgprValuA_X29_I0+0+0+0+1], v[vgprValuA_X29_I0+0+0+0+1], v203 // 
v_and_b32 v[vgprValuB_X29_I0+0+0+0+0], v[vgprValuB_X29_I0+0+0+0+0], v202 // 
v_and_b32 v[vgprValuB_X29_I0+0+0+0+1], v[vgprValuB_X29_I0+0+0+0+1], v203 // 
s_nop 1
v_mfma_f32_4x4x4bf16_1k a[0+0:3+0], v[vgprValuA_X29_I0+0+0+0:vgprValuA_X29_I0+0+0+0+1], v[vgprValuB_X29_I0+0+0+0:vgprValuB_X29_I0+0+0+0+1], a[0:3]


/* closeLoop loopL finalLoop=0 tailLoop=1 */
s_sub_i32 s[sgprLoopCounterL], s[sgprLoopCounterL], 0x4 // dec counterL (tailLoop)
s_add_u32 s[sgprOrigLoopCounter], s[sgprOrigLoopCounter], 0x4 // inc counterL
s_cmp_le_i32 s[sgprLoopCounterL], 0x0              // counterL<=0
s_cbranch_scc1 TailLoopEndL_7                      // exit LoopL


/* tail loop unroll iter 30 */


/* local read a */

_ds_load_b64 v[vgprValuA_X30_I0+0:vgprValuA_X30_I0+0+1], v[vgprLocalReadAddrA] offset:0 // L -> Reg lro=0 swapByteOffset=0 ti=128 vIdx=0 rIdx=0 oIdx=0 buffer=30 iui=0


/* local read b */

_ds_load_b64 v[vgprValuB_X30_I0+0:vgprValuB_X30_I0+0+1], v[vgprLocalReadAddrB] offset:0 // L -> Reg lro=0 swapByteOffset=0 ti=4 vIdx=0 rIdx=0 oIdx=0 buffer=30 iui=0


/* local read inc a */

s_mov_b32 s31, 0x8                                 // inc
_v_add_co_u32 v[vgprLocalReadAddrA], vcc, s31, v[vgprLocalReadAddrA] // lrA += 8 (LSU*bpe)


/* local read inc b */

s_mov_b32 s31, 0x8                                 // inc
_v_add_co_u32 v[vgprLocalReadAddrB], vcc, s31, v[vgprLocalReadAddrB] // lrB += 8 (LSU*bpe)

s_waitcnt lgkmcnt(0)                               // lgkmcnt=0 vmcnt=-14wait for local read


	;; [unrolled: 1-line block ×3, first 2 shown]
/* tail loop mfma iter 30: numReadsIterCoalescedA=1, numReadsIterCoalescedB=1 */
v_and_b32 v201, 63, v[vgprSerial]                  // v201 = v[vgprSerial] % 64
v_lshrrev_b32 v201, 6, v201                        // v201 = v201 / 64
v_lshlrev_b32 v201, 0x2, v201                      // v201 = v201 * 4
v_cmp_ge_i32 s[32:33], v201, s[sgprLoopCounterL]   // check K index >= Size L
v_cndmask_b32 v[vgprValuA_X30_I0+0+0+0+0], v[vgprValuA_X30_I0+0+0+0+0], 0x0, s[32:33] // set 0 if K_idx >= sizeL
v_cndmask_b32 v[vgprValuB_X30_I0+0+0+0+0], v[vgprValuB_X30_I0+0+0+0+0], 0x0, s[32:33] // set 0 if K_idx >= sizeL
v_cndmask_b32 v[vgprValuA_X30_I0+0+0+0+1], v[vgprValuA_X30_I0+0+0+0+1], 0x0, s[32:33] // set 0 if K_idx >= sizeL
v_cndmask_b32 v[vgprValuB_X30_I0+0+0+0+1], v[vgprValuB_X30_I0+0+0+0+1], 0x0, s[32:33] // set 0 if K_idx >= sizeL
_v_sub_u32 v201, s[sgprLoopCounterL], v201         // get distance between size and k index
v_cmp_lt_i32 s[32:33], v201, 4                     // set partial 0 if distance less than input per thread
s_and_b32 s34, s[sgprLoopCounterL], 3              // get inputs for edge thread
s_sub_u32 s34, 4, s34                              // use shift to fill 0 for outside element
s_lshl_b32 s34, s34, 4                             // use shift to fill 0 for outside element
v_mov_b32 v202, -1                                 // set 0xffffffff
v_mov_b32 v203, -1                                 // set 0xffffffff
v_lshrrev_b64 v[202:203], s34, v[202:203]          // rshift mask for partial k
v_cndmask_b32 v202, -1, v202, s[32:33]             // select shifted mask for partial k
v_cndmask_b32 v203, -1, v203, s[32:33]             // select shifted mask for partial k
v_and_b32 v[vgprValuA_X30_I0+0+0+0+0], v[vgprValuA_X30_I0+0+0+0+0], v202 // 
v_and_b32 v[vgprValuA_X30_I0+0+0+0+1], v[vgprValuA_X30_I0+0+0+0+1], v203 // 
v_and_b32 v[vgprValuB_X30_I0+0+0+0+0], v[vgprValuB_X30_I0+0+0+0+0], v202 // 
v_and_b32 v[vgprValuB_X30_I0+0+0+0+1], v[vgprValuB_X30_I0+0+0+0+1], v203 // 
s_nop 1
v_mfma_f32_4x4x4bf16_1k a[0+0:3+0], v[vgprValuA_X30_I0+0+0+0:vgprValuA_X30_I0+0+0+0+1], v[vgprValuB_X30_I0+0+0+0:vgprValuB_X30_I0+0+0+0+1], a[0:3]


/* closeLoop loopL finalLoop=0 tailLoop=1 */
s_sub_i32 s[sgprLoopCounterL], s[sgprLoopCounterL], 0x4 // dec counterL (tailLoop)
s_add_u32 s[sgprOrigLoopCounter], s[sgprOrigLoopCounter], 0x4 // inc counterL
s_cmp_le_i32 s[sgprLoopCounterL], 0x0              // counterL<=0
s_cbranch_scc1 TailLoopEndL_7                      // exit LoopL


/* tail loop unroll iter 31 */


/* local read a */

_ds_load_b64 v[vgprValuA_X31_I0+0:vgprValuA_X31_I0+0+1], v[vgprLocalReadAddrA] offset:0 // L -> Reg lro=0 swapByteOffset=0 ti=128 vIdx=0 rIdx=0 oIdx=0 buffer=31 iui=0


/* local read b */

_ds_load_b64 v[vgprValuB_X31_I0+0:vgprValuB_X31_I0+0+1], v[vgprLocalReadAddrB] offset:0 // L -> Reg lro=0 swapByteOffset=0 ti=4 vIdx=0 rIdx=0 oIdx=0 buffer=31 iui=0


/* local read inc a */

s_mov_b32 s31, 0x18                                // inc
_v_add_co_u32 v[vgprLocalReadAddrA], vcc, s31, v[vgprLocalReadAddrA] // lrA += 24 (LSU*bpe)


/* local read inc b */

s_mov_b32 s31, 0x18                                // inc
_v_add_co_u32 v[vgprLocalReadAddrB], vcc, s31, v[vgprLocalReadAddrB] // lrB += 24 (LSU*bpe)

s_waitcnt lgkmcnt(0)                               // lgkmcnt=0 vmcnt=-14wait for local read


	;; [unrolled: 1-line block ×3, first 2 shown]
/* tail loop mfma iter 31: numReadsIterCoalescedA=1, numReadsIterCoalescedB=1 */
v_and_b32 v201, 63, v[vgprSerial]                  // v201 = v[vgprSerial] % 64
v_lshrrev_b32 v201, 6, v201                        // v201 = v201 / 64
v_lshlrev_b32 v201, 0x2, v201                      // v201 = v201 * 4
v_cmp_ge_i32 s[32:33], v201, s[sgprLoopCounterL]   // check K index >= Size L
v_cndmask_b32 v[vgprValuA_X31_I0+0+0+0+0], v[vgprValuA_X31_I0+0+0+0+0], 0x0, s[32:33] // set 0 if K_idx >= sizeL
v_cndmask_b32 v[vgprValuB_X31_I0+0+0+0+0], v[vgprValuB_X31_I0+0+0+0+0], 0x0, s[32:33] // set 0 if K_idx >= sizeL
v_cndmask_b32 v[vgprValuA_X31_I0+0+0+0+1], v[vgprValuA_X31_I0+0+0+0+1], 0x0, s[32:33] // set 0 if K_idx >= sizeL
v_cndmask_b32 v[vgprValuB_X31_I0+0+0+0+1], v[vgprValuB_X31_I0+0+0+0+1], 0x0, s[32:33] // set 0 if K_idx >= sizeL
_v_sub_u32 v201, s[sgprLoopCounterL], v201         // get distance between size and k index
v_cmp_lt_i32 s[32:33], v201, 4                     // set partial 0 if distance less than input per thread
s_and_b32 s34, s[sgprLoopCounterL], 3              // get inputs for edge thread
s_sub_u32 s34, 4, s34                              // use shift to fill 0 for outside element
s_lshl_b32 s34, s34, 4                             // use shift to fill 0 for outside element
v_mov_b32 v202, -1                                 // set 0xffffffff
v_mov_b32 v203, -1                                 // set 0xffffffff
v_lshrrev_b64 v[202:203], s34, v[202:203]          // rshift mask for partial k
v_cndmask_b32 v202, -1, v202, s[32:33]             // select shifted mask for partial k
v_cndmask_b32 v203, -1, v203, s[32:33]             // select shifted mask for partial k
v_and_b32 v[vgprValuA_X31_I0+0+0+0+0], v[vgprValuA_X31_I0+0+0+0+0], v202 // 
v_and_b32 v[vgprValuA_X31_I0+0+0+0+1], v[vgprValuA_X31_I0+0+0+0+1], v203 // 
v_and_b32 v[vgprValuB_X31_I0+0+0+0+0], v[vgprValuB_X31_I0+0+0+0+0], v202 // 
v_and_b32 v[vgprValuB_X31_I0+0+0+0+1], v[vgprValuB_X31_I0+0+0+0+1], v203 // 
s_nop 1
v_mfma_f32_4x4x4bf16_1k a[0+0:3+0], v[vgprValuA_X31_I0+0+0+0:vgprValuA_X31_I0+0+0+0+1], v[vgprValuB_X31_I0+0+0+0:vgprValuB_X31_I0+0+0+0+1], a[0:3]


/* closeLoop loopL finalLoop=1 tailLoop=1 */
s_sub_i32 s[sgprLoopCounterL], s[sgprLoopCounterL], 0x4 // dec counterL (tailLoop)
s_add_u32 s[sgprOrigLoopCounter], s[sgprOrigLoopCounter], 0x4 // inc counterL
s_cmp_le_i32 s[sgprLoopCounterL], 0x0              // counterL<=0
s_cbranch_scc0 TailLoopBeginL_6                    // restart LoopL
TailLoopEndL_7:

SkipTailLoopL_8:

Summation_End_28:
s_setprio 0                                        // optimization store
/* endSummation: add vgpr [0...198) to pool */
.set NumFullBlocks, UNDEF
.set WgmRemainder1, UNDEF
.set MagicNumberWgmRemainder1, UNDEF
.set ScalarGlobalReadOffsetA, UNDEF

/* Mapping of Acc register -> C Vgpr register */


	;; [unrolled: 1-line block ×3, first 2 shown]
/* not-LocalSplitU: global write indices */

/* computeStoreVgprs */
v_lshrrev_b32 v4, 6, v[vgprSerial]                 // v4 = v[vgprSerial] / 64
v_lshrrev_b32 v1, 1, v4                            // v1 = v4 / 2
v_mul_lo_u32 v1, 0x4, v1                           // wave coordination offset 1
v_and_b32 v5, 3, v[vgprSerial]                     // v5 = v[vgprSerial] % 4
_v_add_lshl_u32 v1, v5, v1, 0                      // coordination 1 = vwb *(wave_id1 + tid1)
v_mul_lo_u32 v2, v1, s[sgprStrideC1J]              //  offset 1
v_mul_lo_u32 v3, v1, s[sgprStrideD1J]              //  offset 1
v_and_b32 v0, 63, v[vgprSerial]                    // v0 = v[vgprSerial] % 64
v_lshrrev_b32 v0, 2, v0                            // v0 = v0 / 4
v_lshlrev_b32 v0, 0x2, v0                          // thread0 * continuous_output
v_and_b32 v5, 1, v4                                // v5 = v4 % 2
v_mul_lo_u32 v5, 0x40, v5                          // wave coordination offset 0
_v_add_lshl_u32 v0, v5, v0, 0                      // coordination 0 = vwa *(wave_id0 + tid0)
s_mul_i32 s31, 128, s[sgprWorkGroup0]              // wgp0 * MT0
_v_add_u32 v0, s31, v0                             // coord 0 = (tid0/MI_m)*4 + waveG0*MIB_m + MT0*SG0
s_mul_i32 s31, 4, s[sgprWorkGroup1]                // wgp1 * MT1
_v_add_u32 v1, s31, v1                             // coord 1 = (tid0%MI_m) + waveG1*MIB_n + MT1*SG1


/* not-LocalSplitU: global write */

s_cmpk_eq_u32 s[sgprBeta], 0x0                     // Beta == 0
s_cbranch_scc0 GW_Beta_43                          // Branch if Beta is not zero

s_and_b32 s32, 127, s[sgprSizeI]                   // s32 = s[sgprSizeI] % 128
s_add_u32 s33, -0x1, s[sgprNumWorkGroups0]         // 
s_cmp_ge_u32 s[sgprWorkGroup0], s33                // wg0 >= nwg0-1 ?
s_cselect_b32 s32, s32, 0                          // set rMT0
s_cmpk_gt_u32 s32, 0x0                             // rMT0 > 0
s_cbranch_scc1 GW_B0_E1_34                         // jump if edges required
s_and_b32 s32, 3, s[sgprSizeJ]                     // s32 = s[sgprSizeJ] % 4
s_add_u32 s33, -0x1, s[sgprNumWorkGroups1]         // 
s_cmp_ge_u32 s[sgprWorkGroup1], s33                // wg1 >= nwg1-1
s_cselect_b32 s32, s32, 0                          // set rMT1
s_cmpk_gt_u32 s32, 0x0                             // rMT1 > 0
s_cbranch_scc1 GW_B0_E1_34                         // jump if edges required
GW_B0_E0_31:

/* edge=0, allocate 2 sgpr. perBatchTmpS=2 perBatchMaskS=0 perElementMaskS=0 elementsPerBatch=58 */
/* optSingleColVgpr=1 optSharedColVgpr=0 optSGPRUsage=BufferLoad_Mask optSrdIncForRow=1 */
s_sleep 3 // optimization: sync and wait
s_barrier

/******************************************/
/* Global Write Alpha Batch #0 (d1,d0,vc1,vc0) = */
/*    (0,0,0,0:vw4)                       */
/******************************************/

/* calc coords, apply mask, and issue loads (if necessary) */
/* (d1,vc1,d0,vc0)=(0,0,0,0) */
_v_add_lshl_u32 v10, v3, v0, 0x1                   // optSingleColVgpr scaleToBpe: sharedAddrVgpr <- cinRowPtr + coord0, scaled by BPE. BSHERE:coord0=0, coord0Vgpr=0
v_accvgpr_read_b32 v[vgprValuC+12], acc0 // copy acc to vreg[0]
v_accvgpr_read_b32 v[vgprValuC+13], acc1 // copy acc to vreg[1]
v_accvgpr_read_b32 v[vgprValuC+14], acc2 // copy acc to vreg[2]
v_accvgpr_read_b32 v[vgprValuC+15], acc3 // copy acc to vreg[3]
s_nop 1                                            // 2 wait states required before reading vgpr

/* rC *= alpha batchElements=[(0, 0, 0, 0)] */
v_mul_f32 v[vgprValuC+12], s[sgprAlpha], v[vgprValuC+12] // *= alpha
v_mul_f32 v[vgprValuC+13], s[sgprAlpha], v[vgprValuC+13] // *= alpha
	;; [unrolled: 1-line block ×4, first 2 shown]

/* apply mask, calc new C and issue writes */
v_mov_b32 v7, 0xffff0000                           // mask for pack two bfloat16 element to 32bit
v_mov_b32 v8, 0x7fff0000                           // fp32 Nan
v_mov_b32 v9, 0x7fff                               // rounding bias for bfloat16
v_cmp_u_f32 s[32:33], v[vgprValuC+12], v[vgprValuC+12] // check Nan
v_bfe_u32 v6, v[vgprValuC+12], 16, 1               // Non-Nan case: store lsb of bf16
v_add3_u32 v6, v[vgprValuC+12], v6, v9             // Non-Nan case: add lsb and the increment for rounding
v_cndmask_b32 v[vgprValuC+12], v6, v8, s[32:33]    // 
v_lshrrev_b32 v[vgprValuC+12], 16, v[vgprValuC+12] // convert C to bf16
v_cmp_u_f32 s[32:33], v[vgprValuC+13], v[vgprValuC+13] // check Nan
v_bfe_u32 v6, v[vgprValuC+13], 16, 1               // Non-Nan case: store lsb of bf16
v_add3_u32 v6, v[vgprValuC+13], v6, v9             // Non-Nan case: add lsb and the increment for rounding
v_cndmask_b32 v[vgprValuC+13], v6, v8, s[32:33]    // 
v_and_or_b32 v12, v[vgprValuC+13], v7, v[vgprValuC+12] // pack two bf16 to dword
v_cmp_u_f32 s[32:33], v[vgprValuC+14], v[vgprValuC+14] // check Nan
v_bfe_u32 v6, v[vgprValuC+14], 16, 1               // Non-Nan case: store lsb of bf16
v_add3_u32 v6, v[vgprValuC+14], v6, v9             // Non-Nan case: add lsb and the increment for rounding
v_cndmask_b32 v[vgprValuC+14], v6, v8, s[32:33]    // 
v_lshrrev_b32 v[vgprValuC+14], 16, v[vgprValuC+14] // convert C to bf16
v_cmp_u_f32 s[32:33], v[vgprValuC+15], v[vgprValuC+15] // check Nan
v_bfe_u32 v6, v[vgprValuC+15], 16, 1               // Non-Nan case: store lsb of bf16
v_add3_u32 v6, v[vgprValuC+15], v6, v9             // Non-Nan case: add lsb and the increment for rounding
v_cndmask_b32 v[vgprValuC+15], v6, v8, s[32:33]    // 
v_and_or_b32 v13, v[vgprValuC+15], v7, v[vgprValuC+14] // pack two bf16 to dword
_buffer_store_b64 v[12:13], v10, s[sgprSrdD:sgprSrdD+3], 0, offen, offset:0 // store D
s_nop 0                                            // 1 wait state required when next inst writes vgprs held by previous dwordx4 store inst
s_branch label_GW_End_42                           // jump to end
GW_B0_E1_34:

/* edge=1, allocate 6 sgpr. perBatchTmpS=4 perBatchMaskS=2 perElementMaskS=0 elementsPerBatch=120 */
/* optSingleColVgpr=0 optSharedColVgpr=0 optSGPRUsage=BufferLoad_Edge_Mask optSrdIncForRow=0 */
s_sleep 3 // optimization: sync and wait
s_barrier

/******************************************/
/* Global Write Alpha Edge Batch #0 (d1,d0,vc1,vc0) = */
/*    (0,0,0,0:vw1); (0,0,0,1:vw1); (0,0,0,2:vw1); (0,0,0,3:vw1) */
/******************************************/

/* calc coords, apply mask, and issue loads (if necessary) */
/* (d1,vc1,d0,vc0)=(0,0,0,0) */
v_cmp_lt_u32 s[52:53], v0, s[sgprSizeI]            // coord0 < size0
v_cmp_lt_u32 s[56:57], v1, s[sgprSizeJ]            // coord1 < size1
s_and_b64 s[56:57], s[52:53], s[56:57]             // in0 && in1
_v_add_lshl_u32 v10, v3, v0, 0x1                   // scaleToBpe: accumulate d0 lower and *= bpe into Cin addr
v_cndmask_b32 v10, -1, v10, s[56:57]               // LDD clip if OOB. offset
/* (d1,vc1,d0,vc0)=(0,0,0,1) */
_v_add_co_u32 v4, vcc, v0, 1                       // coord0.1: coord0 += d0*sg0*VW + vc0
v_cmp_lt_u32 s[52:53], v4, s[sgprSizeI]            // coord0 < size0
v_cmp_lt_u32 s[56:57], v1, s[sgprSizeJ]            // coord1 < size1
s_and_b64 s[56:57], s[52:53], s[56:57]             // in0 && in1
_v_add_lshl_u32 v12, v3, v4, 0x1                   // scaleToBpe: accumulate d0 lower and *= bpe into Cin addr
v_cndmask_b32 v12, -1, v12, s[56:57]               // LDD clip if OOB. offset
/* (d1,vc1,d0,vc0)=(0,0,0,2) */
_v_add_co_u32 v4, vcc, v0, 2                       // coord0.1: coord0 += d0*sg0*VW + vc0
	;; [unrolled: 7-line block ×3, first 2 shown]
v_cmp_lt_u32 s[52:53], v4, s[sgprSizeI]            // coord0 < size0
v_cmp_lt_u32 s[56:57], v1, s[sgprSizeJ]            // coord1 < size1
s_and_b64 s[56:57], s[52:53], s[56:57]             // in0 && in1
_v_add_lshl_u32 v16, v3, v4, 0x1                   // scaleToBpe: accumulate d0 lower and *= bpe into Cin addr
v_cndmask_b32 v16, -1, v16, s[56:57]               // LDD clip if OOB. offset
v_accvgpr_read_b32 v[vgprValuC+11], acc0 // copy acc to vreg[0]
v_accvgpr_read_b32 v[vgprValuC+13], acc1 // copy acc to vreg[1]
v_accvgpr_read_b32 v[vgprValuC+15], acc2 // copy acc to vreg[2]
v_accvgpr_read_b32 v[vgprValuC+17], acc3 // copy acc to vreg[3]
s_nop 1                                            // 2 wait states required before reading vgpr

/* rC *= alpha batchElements=[(0, 0, 0, 0), (0, 0, 0, 1), (0, 0, 0, 2), (0, 0, 0, 3)] */
v_mul_f32 v[vgprValuC+11], s[sgprAlpha], v[vgprValuC+11] // *= alpha
v_mul_f32 v[vgprValuC+13], s[sgprAlpha], v[vgprValuC+13] // *= alpha
	;; [unrolled: 1-line block ×4, first 2 shown]

/* apply mask, calc new C and issue writes */
v_mov_b32 v7, 0xffff0000                           // mask for pack two bfloat16 element to 32bit
v_mov_b32 v8, 0x7fff0000                           // fp32 Nan
v_mov_b32 v9, 0x7fff                               // rounding bias for bfloat16
v_cmp_u_f32 s[52:53], v[vgprValuC+11], v[vgprValuC+11] // check Nan
v_bfe_u32 v6, v[vgprValuC+11], 16, 1               // Non-Nan case: store lsb of bf16
v_add3_u32 v6, v[vgprValuC+11], v6, v9             // Non-Nan case: add lsb and the increment for rounding
v_cndmask_b32 v[vgprValuC+11], v6, v8, s[52:53]    // 
v_lshrrev_b32 v[vgprValuC+11], 16, v[vgprValuC+11] // convert C to bf16
_buffer_store_b16 v11, v10, s[sgprSrdD:sgprSrdD+3], 0, offen, offset:0 // store D
v_cmp_u_f32 s[52:53], v[vgprValuC+13], v[vgprValuC+13] // check Nan
v_bfe_u32 v6, v[vgprValuC+13], 16, 1               // Non-Nan case: store lsb of bf16
v_add3_u32 v6, v[vgprValuC+13], v6, v9             // Non-Nan case: add lsb and the increment for rounding
v_cndmask_b32 v[vgprValuC+13], v6, v8, s[52:53]    // 
v_lshrrev_b32 v[vgprValuC+13], 16, v[vgprValuC+13] // convert C to bf16
_buffer_store_b16 v13, v12, s[sgprSrdD:sgprSrdD+3], 0, offen, offset:0 // store D
	;; [unrolled: 6-line block ×4, first 2 shown]
s_nop 0                                            // 1 wait state required when next inst writes vgprs held by previous dwordx4 store inst
s_branch label_GW_End_42                           // jump to end
GW_Beta_43:
s_and_b32 s32, 127, s[sgprSizeI]                   // s32 = s[sgprSizeI] % 128
s_add_u32 s33, -0x1, s[sgprNumWorkGroups0]         // 
s_cmp_ge_u32 s[sgprWorkGroup0], s33                // wg0 >= nwg0-1 ?
s_cselect_b32 s32, s32, 0                          // set rMT0
s_cmpk_gt_u32 s32, 0x0                             // rMT0 > 0
s_cbranch_scc1 GW_B1_E1_41                         // jump if edges required
s_and_b32 s32, 3, s[sgprSizeJ]                     // s32 = s[sgprSizeJ] % 4
s_add_u32 s33, -0x1, s[sgprNumWorkGroups1]         // 
s_cmp_ge_u32 s[sgprWorkGroup1], s33                // wg1 >= nwg1-1
s_cselect_b32 s32, s32, 0                          // set rMT1
s_cmpk_gt_u32 s32, 0x0                             // rMT1 > 0
s_cbranch_scc1 GW_B1_E1_41                         // jump if edges required
GW_B1_E0_38:

/* edge=0, allocate 2 sgpr. perBatchTmpS=2 perBatchMaskS=0 perElementMaskS=0 elementsPerBatch=38 */
/* optSingleColVgpr=1 optSharedColVgpr=0 optSGPRUsage=BufferLoad_Mask optSrdIncForRow=1 */
s_sleep 3 // optimization: sync and wait
s_barrier

/******************************************/
/* Global Write Alpha Beta Batch #0 (d1,d0,vc1,vc0) = */
/*    (0,0,0,0:vw4)                       */
/******************************************/

/* calc coords, apply mask, and issue loads (if necessary) */
/* (d1,vc1,d0,vc0)=(0,0,0,0) */
_v_add_lshl_u32 v11, v2, v0, 0x1                   // optSingleColVgpr scaleToBpe: sharedAddrVgpr <- cinRowPtr + coord0, scaled by BPE. BSHERE:coord0=0, coord0Vgpr=0
_buffer_load_b64 v[12:13], v11, s[sgprSrdC:sgprSrdC+3], 0, offen offset:0 // load C for beta calc
_v_add_lshl_u32 v10, v3, v0, 0x1                   // optSingleColVgpr scaleToBpe: sharedAddrVgpr <- cinRowPtr + coord0, scaled by BPE. BSHERE:coord0=0, coord0Vgpr=0
s_sleep 3 // optimization: sync and wait
s_barrier
v_accvgpr_read_b32 v[vgprValuC+16], acc0 // copy acc to vreg[0]
v_accvgpr_read_b32 v[vgprValuC+17], acc1 // copy acc to vreg[1]
v_accvgpr_read_b32 v[vgprValuC+18], acc2 // copy acc to vreg[2]
v_accvgpr_read_b32 v[vgprValuC+19], acc3 // copy acc to vreg[3]
s_nop 1                                            // 2 wait states required before reading vgpr

/* rC *= alpha batchElements=[(0, 0, 0, 0)] */
v_mul_f32 v[vgprValuC+16], s[sgprAlpha], v[vgprValuC+16] // *= alpha
v_mul_f32 v[vgprValuC+17], s[sgprAlpha], v[vgprValuC+17] // *= alpha
	;; [unrolled: 1-line block ×4, first 2 shown]

/* apply mask, calc new C and issue writes */
v_mov_b32 v7, 0xffff0000                           // mask for pack two bfloat16 element to 32bit
v_mov_b32 v8, 0x7fff0000                           // fp32 Nan
v_mov_b32 v9, 0x7fff                               // rounding bias for bfloat16

s_waitcnt vmcnt(0)                                 // wait C (interleaved) 0 = 1 - 0 + 0 - 1
v_lshlrev_b32 v4, 16, v12                          // convert bf16 to fp32
_v_mac_f32 v[vgprValuC+16], v4, s[sgprBeta]        // finalSum = sum*alpha + C*beta
v_and_b32 v4, v12, v7                              // convert bf16 to fp32
_v_mac_f32 v[vgprValuC+17], v4, s[sgprBeta]        // finalSum = sum*alpha + C*beta
v_lshlrev_b32 v4, 16, v13                          // convert bf16 to fp32
_v_mac_f32 v[vgprValuC+18], v4, s[sgprBeta]        // finalSum = sum*alpha + C*beta
v_and_b32 v4, v13, v7                              // convert bf16 to fp32
_v_mac_f32 v[vgprValuC+19], v4, s[sgprBeta]        // finalSum = sum*alpha + C*beta
v_cmp_u_f32 s[32:33], v[vgprValuC+16], v[vgprValuC+16] // check Nan
v_bfe_u32 v6, v[vgprValuC+16], 16, 1               // Non-Nan case: store lsb of bf16
v_add3_u32 v6, v[vgprValuC+16], v6, v9             // Non-Nan case: add lsb and the increment for rounding
v_cndmask_b32 v[vgprValuC+16], v6, v8, s[32:33]    // 
v_lshrrev_b32 v[vgprValuC+16], 16, v[vgprValuC+16] // convert C to bf16
v_cmp_u_f32 s[32:33], v[vgprValuC+17], v[vgprValuC+17] // check Nan
v_bfe_u32 v6, v[vgprValuC+17], 16, 1               // Non-Nan case: store lsb of bf16
v_add3_u32 v6, v[vgprValuC+17], v6, v9             // Non-Nan case: add lsb and the increment for rounding
v_cndmask_b32 v[vgprValuC+17], v6, v8, s[32:33]    // 
v_and_or_b32 v16, v[vgprValuC+17], v7, v[vgprValuC+16] // pack two bf16 to dword
v_cmp_u_f32 s[32:33], v[vgprValuC+18], v[vgprValuC+18] // check Nan
v_bfe_u32 v6, v[vgprValuC+18], 16, 1               // Non-Nan case: store lsb of bf16
v_add3_u32 v6, v[vgprValuC+18], v6, v9             // Non-Nan case: add lsb and the increment for rounding
v_cndmask_b32 v[vgprValuC+18], v6, v8, s[32:33]    // 
v_lshrrev_b32 v[vgprValuC+18], 16, v[vgprValuC+18] // convert C to bf16
v_cmp_u_f32 s[32:33], v[vgprValuC+19], v[vgprValuC+19] // check Nan
v_bfe_u32 v6, v[vgprValuC+19], 16, 1               // Non-Nan case: store lsb of bf16
v_add3_u32 v6, v[vgprValuC+19], v6, v9             // Non-Nan case: add lsb and the increment for rounding
v_cndmask_b32 v[vgprValuC+19], v6, v8, s[32:33]    // 
v_and_or_b32 v17, v[vgprValuC+19], v7, v[vgprValuC+18] // pack two bf16 to dword
_buffer_store_b64 v[16:17], v10, s[sgprSrdD:sgprSrdD+3], 0, offen, offset:0 // store D
s_nop 0                                            // 1 wait state required when next inst writes vgprs held by previous dwordx4 store inst
s_branch label_GW_End_42                           // jump to end
GW_B1_E1_41:

/* edge=1, allocate 6 sgpr. perBatchTmpS=4 perBatchMaskS=2 perElementMaskS=0 elementsPerBatch=80 */
/* optSingleColVgpr=0 optSharedColVgpr=0 optSGPRUsage=BufferLoad_Edge_Mask optSrdIncForRow=0 */
s_sleep 3 // optimization: sync and wait
s_barrier

/******************************************/
/* Global Write Alpha Beta Edge Batch #0 (d1,d0,vc1,vc0) = */
/*    (0,0,0,0:vw1); (0,0,0,1:vw1); (0,0,0,2:vw1); (0,0,0,3:vw1) */
/******************************************/

/* calc coords, apply mask, and issue loads (if necessary) */
/* (d1,vc1,d0,vc0)=(0,0,0,0) */
v_cmp_lt_u32 s[52:53], v0, s[sgprSizeI]            // coord0 < size0
v_cmp_lt_u32 s[56:57], v1, s[sgprSizeJ]            // coord1 < size1
s_and_b64 s[56:57], s[52:53], s[56:57]             // in0 && in1
_v_add_lshl_u32 v10, v2, v0, 0x1                   // scaleToBpe: accumulate d0 lower and *= bpe into Cin addr
v_cndmask_b32 v10, -1, v10, s[56:57]               // LDC clip if OOB. offset
_buffer_load_d16_b16 v11, v10, s[sgprSrdC:sgprSrdC+3], 0, offen offset:0 // load C for beta calc
_v_add_lshl_u32 v10, v3, v0, 0x1                   // scaleToBpe: accumulate d0 lower and *= bpe into Cin addr
v_cndmask_b32 v10, -1, v10, s[56:57]               // LDD clip if OOB. offset
/* (d1,vc1,d0,vc0)=(0,0,0,1) */
_v_add_co_u32 v4, vcc, v0, 1                       // coord0.1: coord0 += d0*sg0*VW + vc0
v_cmp_lt_u32 s[52:53], v4, s[sgprSizeI]            // coord0 < size0
v_cmp_lt_u32 s[56:57], v1, s[sgprSizeJ]            // coord1 < size1
s_and_b64 s[56:57], s[52:53], s[56:57]             // in0 && in1
_v_add_lshl_u32 v13, v2, v4, 0x1                   // scaleToBpe: accumulate d0 lower and *= bpe into Cin addr
v_cndmask_b32 v13, -1, v13, s[56:57]               // LDC clip if OOB. offset
_buffer_load_d16_b16 v14, v13, s[sgprSrdC:sgprSrdC+3], 0, offen offset:0 // load C for beta calc
_v_add_lshl_u32 v13, v3, v4, 0x1                   // scaleToBpe: accumulate d0 lower and *= bpe into Cin addr
v_cndmask_b32 v13, -1, v13, s[56:57]               // LDD clip if OOB. offset
/* (d1,vc1,d0,vc0)=(0,0,0,2) */
_v_add_co_u32 v4, vcc, v0, 2                       // coord0.1: coord0 += d0*sg0*VW + vc0
v_cmp_lt_u32 s[52:53], v4, s[sgprSizeI]            // coord0 < size0
v_cmp_lt_u32 s[56:57], v1, s[sgprSizeJ]            // coord1 < size1
s_and_b64 s[56:57], s[52:53], s[56:57]             // in0 && in1
_v_add_lshl_u32 v16, v2, v4, 0x1                   // scaleToBpe: accumulate d0 lower and *= bpe into Cin addr
v_cndmask_b32 v16, -1, v16, s[56:57]               // LDC clip if OOB. offset
_buffer_load_d16_b16 v17, v16, s[sgprSrdC:sgprSrdC+3], 0, offen offset:0 // load C for beta calc
_v_add_lshl_u32 v16, v3, v4, 0x1                   // scaleToBpe: accumulate d0 lower and *= bpe into Cin addr
v_cndmask_b32 v16, -1, v16, s[56:57]               // LDD clip if OOB. offset
/* (d1,vc1,d0,vc0)=(0,0,0,3) */
_v_add_co_u32 v4, vcc, v0, 3                       // coord0.1: coord0 += d0*sg0*VW + vc0
v_cmp_lt_u32 s[52:53], v4, s[sgprSizeI]            // coord0 < size0
v_cmp_lt_u32 s[56:57], v1, s[sgprSizeJ]            // coord1 < size1
s_and_b64 s[56:57], s[52:53], s[56:57]             // in0 && in1
_v_add_lshl_u32 v19, v2, v4, 0x1                   // scaleToBpe: accumulate d0 lower and *= bpe into Cin addr
v_cndmask_b32 v19, -1, v19, s[56:57]               // LDC clip if OOB. offset
_buffer_load_d16_b16 v20, v19, s[sgprSrdC:sgprSrdC+3], 0, offen offset:0 // load C for beta calc
_v_add_lshl_u32 v19, v3, v4, 0x1                   // scaleToBpe: accumulate d0 lower and *= bpe into Cin addr
v_cndmask_b32 v19, -1, v19, s[56:57]               // LDD clip if OOB. offset
s_sleep 3 // optimization: sync and wait
s_barrier
v_accvgpr_read_b32 v[vgprValuC+12], acc0 // copy acc to vreg[0]
v_accvgpr_read_b32 v[vgprValuC+15], acc1 // copy acc to vreg[1]
v_accvgpr_read_b32 v[vgprValuC+18], acc2 // copy acc to vreg[2]
v_accvgpr_read_b32 v[vgprValuC+21], acc3 // copy acc to vreg[3]
s_nop 1                                            // 2 wait states required before reading vgpr

/* rC *= alpha batchElements=[(0, 0, 0, 0), (0, 0, 0, 1), (0, 0, 0, 2), (0, 0, 0, 3)] */
v_mul_f32 v[vgprValuC+12], s[sgprAlpha], v[vgprValuC+12] // *= alpha
v_mul_f32 v[vgprValuC+15], s[sgprAlpha], v[vgprValuC+15] // *= alpha
v_mul_f32 v[vgprValuC+18], s[sgprAlpha], v[vgprValuC+18] // *= alpha
v_mul_f32 v[vgprValuC+21], s[sgprAlpha], v[vgprValuC+21] // *= alpha
s_waitcnt vmcnt(0)                                 // wait C

/* apply mask, calc new C and issue writes */
v_mov_b32 v7, 0xffff0000                           // mask for pack two bfloat16 element to 32bit
v_mov_b32 v8, 0x7fff0000                           // fp32 Nan
v_mov_b32 v9, 0x7fff                               // rounding bias for bfloat16
v_lshlrev_b32 v4, 16, v11                          // convert bf16 to fp32
_v_mac_f32 v[vgprValuC+12], v4, s[sgprBeta]        // finalSum = sum*alpha + C*beta
v_cmp_u_f32 s[52:53], v[vgprValuC+12], v[vgprValuC+12] // check Nan
v_bfe_u32 v6, v[vgprValuC+12], 16, 1               // Non-Nan case: store lsb of bf16
v_add3_u32 v6, v[vgprValuC+12], v6, v9             // Non-Nan case: add lsb and the increment for rounding
v_cndmask_b32 v[vgprValuC+12], v6, v8, s[52:53]    // 
v_lshrrev_b32 v[vgprValuC+12], 16, v[vgprValuC+12] // convert C to bf16
_buffer_store_b16 v12, v10, s[sgprSrdD:sgprSrdD+3], 0, offen, offset:0 // store D
v_lshlrev_b32 v4, 16, v14                          // convert bf16 to fp32
_v_mac_f32 v[vgprValuC+15], v4, s[sgprBeta]        // finalSum = sum*alpha + C*beta
v_cmp_u_f32 s[52:53], v[vgprValuC+15], v[vgprValuC+15] // check Nan
v_bfe_u32 v6, v[vgprValuC+15], 16, 1               // Non-Nan case: store lsb of bf16
v_add3_u32 v6, v[vgprValuC+15], v6, v9             // Non-Nan case: add lsb and the increment for rounding
v_cndmask_b32 v[vgprValuC+15], v6, v8, s[52:53]    // 
v_lshrrev_b32 v[vgprValuC+15], 16, v[vgprValuC+15] // convert C to bf16
_buffer_store_b16 v15, v13, s[sgprSrdD:sgprSrdD+3], 0, offen, offset:0 // store D
	;; [unrolled: 8-line block ×4, first 2 shown]
s_nop 0                                            // 1 wait state required when next inst writes vgprs held by previous dwordx4 store inst
s_branch label_GW_End_42                           // jump to end
label_GW_End_42:

label_0047:  /// KernelEnd
s_endpgm                                           // Kernel End

